;; amdgpu-corpus repo=ROCm/rocFFT kind=compiled arch=gfx906 opt=O3
	.text
	.amdgcn_target "amdgcn-amd-amdhsa--gfx906"
	.amdhsa_code_object_version 6
	.protected	bluestein_single_back_len1190_dim1_sp_op_CI_CI ; -- Begin function bluestein_single_back_len1190_dim1_sp_op_CI_CI
	.globl	bluestein_single_back_len1190_dim1_sp_op_CI_CI
	.p2align	8
	.type	bluestein_single_back_len1190_dim1_sp_op_CI_CI,@function
bluestein_single_back_len1190_dim1_sp_op_CI_CI: ; @bluestein_single_back_len1190_dim1_sp_op_CI_CI
; %bb.0:
	v_mul_u32_u24_e32 v1, 0x304, v0
	s_load_dwordx4 s[0:3], s[4:5], 0x28
	v_lshrrev_b32_e32 v1, 16, v1
	v_mad_u64_u32 v[80:81], s[6:7], s6, 3, v[1:2]
	v_mov_b32_e32 v81, 0
	s_waitcnt lgkmcnt(0)
	v_cmp_gt_u64_e32 vcc, s[0:1], v[80:81]
	s_and_saveexec_b64 s[0:1], vcc
	s_cbranch_execz .LBB0_23
; %bb.1:
	s_mov_b32 s0, 0xaaaaaaab
	v_mul_hi_u32 v2, v80, s0
	v_mul_lo_u16_e32 v1, 0x55, v1
	s_load_dwordx2 s[8:9], s[4:5], 0x0
	s_load_dwordx2 s[10:11], s[4:5], 0x38
	v_sub_u16_e32 v110, v0, v1
	v_lshrrev_b32_e32 v0, 1, v2
	v_lshl_add_u32 v0, v0, 1, v0
	v_sub_u32_e32 v0, v80, v0
	v_mul_u32_u24_e32 v58, 0x4a6, v0
	s_movk_i32 s0, 0x46
	v_cmp_gt_u16_e64 s[0:1], s0, v110
	v_lshlrev_b32_e32 v109, 3, v110
	v_lshlrev_b32_e32 v111, 3, v58
	s_and_saveexec_b64 s[6:7], s[0:1]
	s_cbranch_execz .LBB0_3
; %bb.2:
	s_load_dwordx2 s[12:13], s[4:5], 0x18
	s_waitcnt lgkmcnt(0)
	s_load_dwordx4 s[12:15], s[12:13], 0x0
	s_waitcnt lgkmcnt(0)
	v_mad_u64_u32 v[0:1], s[16:17], s14, v80, 0
	v_mad_u64_u32 v[2:3], s[16:17], s12, v110, 0
	;; [unrolled: 1-line block ×4, first 2 shown]
	v_mov_b32_e32 v1, v4
	v_lshlrev_b64 v[0:1], 3, v[0:1]
	v_mov_b32_e32 v3, v5
	v_mov_b32_e32 v6, s3
	v_lshlrev_b64 v[2:3], 3, v[2:3]
	v_add_co_u32_e32 v0, vcc, s2, v0
	v_addc_co_u32_e32 v1, vcc, v6, v1, vcc
	v_add_co_u32_e32 v0, vcc, v0, v2
	v_addc_co_u32_e32 v1, vcc, v1, v3, vcc
	v_mov_b32_e32 v2, s9
	v_add_co_u32_e32 v65, vcc, s8, v109
	s_mul_i32 s2, s13, 0x230
	s_mul_hi_u32 s3, s12, 0x230
	v_addc_co_u32_e32 v66, vcc, 0, v2, vcc
	s_add_i32 s2, s3, s2
	s_mul_i32 s3, s12, 0x230
	v_mov_b32_e32 v3, s2
	v_add_co_u32_e32 v2, vcc, s3, v0
	v_addc_co_u32_e32 v3, vcc, v1, v3, vcc
	v_mov_b32_e32 v5, s2
	v_add_co_u32_e32 v4, vcc, s3, v2
	v_addc_co_u32_e32 v5, vcc, v3, v5, vcc
	;; [unrolled: 3-line block ×3, first 2 shown]
	global_load_dwordx2 v[8:9], v[0:1], off
	global_load_dwordx2 v[10:11], v[2:3], off
	global_load_dwordx2 v[12:13], v[4:5], off
	global_load_dwordx2 v[14:15], v[6:7], off
	global_load_dwordx2 v[16:17], v109, s[8:9]
	global_load_dwordx2 v[18:19], v109, s[8:9] offset:560
	global_load_dwordx2 v[20:21], v109, s[8:9] offset:1120
	;; [unrolled: 1-line block ×3, first 2 shown]
	v_mov_b32_e32 v1, s2
	v_add_co_u32_e32 v0, vcc, s3, v6
	v_addc_co_u32_e32 v1, vcc, v7, v1, vcc
	global_load_dwordx2 v[2:3], v[0:1], off
	v_mov_b32_e32 v4, s2
	v_add_co_u32_e32 v0, vcc, s3, v0
	v_addc_co_u32_e32 v1, vcc, v1, v4, vcc
	global_load_dwordx2 v[4:5], v[0:1], off
	;; [unrolled: 4-line block ×4, first 2 shown]
	global_load_dwordx2 v[26:27], v109, s[8:9] offset:2240
	global_load_dwordx2 v[28:29], v109, s[8:9] offset:2800
	;; [unrolled: 1-line block ×4, first 2 shown]
	v_mov_b32_e32 v34, s2
	v_add_co_u32_e32 v0, vcc, s3, v0
	v_addc_co_u32_e32 v1, vcc, v1, v34, vcc
	s_movk_i32 s12, 0x1000
	v_add_co_u32_e32 v36, vcc, s12, v65
	v_addc_co_u32_e32 v37, vcc, 0, v66, vcc
	global_load_dwordx2 v[34:35], v[0:1], off
	v_mov_b32_e32 v38, s2
	v_add_co_u32_e32 v0, vcc, s3, v0
	v_addc_co_u32_e32 v1, vcc, v1, v38, vcc
	global_load_dwordx2 v[38:39], v[0:1], off
	v_mov_b32_e32 v40, s2
	;; [unrolled: 4-line block ×3, first 2 shown]
	v_add_co_u32_e32 v0, vcc, s3, v0
	v_addc_co_u32_e32 v1, vcc, v1, v42, vcc
	global_load_dwordx2 v[42:43], v[0:1], off
	global_load_dwordx2 v[44:45], v[36:37], off offset:384
	global_load_dwordx2 v[46:47], v[36:37], off offset:944
	;; [unrolled: 1-line block ×4, first 2 shown]
	v_mov_b32_e32 v52, s2
	v_add_co_u32_e32 v0, vcc, s3, v0
	v_addc_co_u32_e32 v1, vcc, v1, v52, vcc
	global_load_dwordx2 v[52:53], v[0:1], off
	v_mov_b32_e32 v54, s2
	v_add_co_u32_e32 v0, vcc, s3, v0
	v_addc_co_u32_e32 v1, vcc, v1, v54, vcc
	global_load_dwordx2 v[54:55], v[0:1], off
	;; [unrolled: 4-line block ×3, first 2 shown]
	global_load_dwordx2 v[59:60], v[36:37], off offset:2624
	global_load_dwordx2 v[61:62], v[36:37], off offset:3184
	;; [unrolled: 1-line block ×3, first 2 shown]
	v_mov_b32_e32 v36, s2
	v_add_co_u32_e32 v0, vcc, s3, v0
	v_addc_co_u32_e32 v1, vcc, v1, v36, vcc
	s_movk_i32 s12, 0x2000
	v_add_co_u32_e32 v65, vcc, s12, v65
	v_addc_co_u32_e32 v66, vcc, 0, v66, vcc
	global_load_dwordx2 v[36:37], v[0:1], off
	v_mov_b32_e32 v69, s2
	v_add_co_u32_e32 v0, vcc, s3, v0
	v_addc_co_u32_e32 v1, vcc, v1, v69, vcc
	global_load_dwordx2 v[67:68], v[65:66], off offset:208
	global_load_dwordx2 v[69:70], v[0:1], off
	global_load_dwordx2 v[71:72], v[65:66], off offset:768
	s_waitcnt vmcnt(29)
	v_mul_f32_e32 v0, v9, v17
	v_mul_f32_e32 v1, v8, v17
	v_fmac_f32_e32 v0, v8, v16
	v_lshl_add_u32 v65, v110, 3, v111
	v_fma_f32 v1, v9, v16, -v1
	ds_write_b64 v65, v[0:1]
	s_waitcnt vmcnt(28)
	v_mul_f32_e32 v0, v11, v19
	v_mul_f32_e32 v1, v10, v19
	s_waitcnt vmcnt(27)
	v_mul_f32_e32 v8, v13, v21
	v_mul_f32_e32 v9, v12, v21
	v_fmac_f32_e32 v0, v10, v18
	v_add_u32_e32 v16, v111, v109
	v_fma_f32 v1, v11, v18, -v1
	v_fmac_f32_e32 v8, v12, v20
	v_fma_f32 v9, v13, v20, -v9
	ds_write2_b64 v16, v[0:1], v[8:9] offset0:70 offset1:140
	s_waitcnt vmcnt(21)
	v_mul_f32_e32 v8, v3, v27
	v_mul_f32_e32 v0, v15, v23
	v_mul_f32_e32 v1, v14, v23
	v_fmac_f32_e32 v8, v2, v26
	v_mul_f32_e32 v2, v2, v27
	v_fmac_f32_e32 v0, v14, v22
	v_fma_f32 v1, v15, v22, -v1
	v_fma_f32 v9, v3, v26, -v2
	v_add_u32_e32 v2, 0x400, v16
	ds_write2_b64 v2, v[0:1], v[8:9] offset0:82 offset1:152
	s_waitcnt vmcnt(20)
	v_mul_f32_e32 v0, v5, v29
	v_mul_f32_e32 v1, v4, v29
	s_waitcnt vmcnt(19)
	v_mul_f32_e32 v2, v7, v31
	v_mul_f32_e32 v3, v6, v31
	v_fmac_f32_e32 v0, v4, v28
	v_fma_f32 v1, v5, v28, -v1
	v_fmac_f32_e32 v2, v6, v30
	v_fma_f32 v3, v7, v30, -v3
	v_add_u32_e32 v4, 0x800, v16
	ds_write2_b64 v4, v[0:1], v[2:3] offset0:94 offset1:164
	s_waitcnt vmcnt(18)
	v_mul_f32_e32 v0, v25, v33
	v_mul_f32_e32 v1, v24, v33
	v_fmac_f32_e32 v0, v24, v32
	v_fma_f32 v1, v25, v32, -v1
	s_waitcnt vmcnt(13)
	v_mul_f32_e32 v2, v35, v45
	v_mul_f32_e32 v3, v34, v45
	v_fmac_f32_e32 v2, v34, v44
	v_fma_f32 v3, v35, v44, -v3
	v_add_u32_e32 v4, 0xc00, v16
	ds_write2_b64 v4, v[0:1], v[2:3] offset0:106 offset1:176
	s_waitcnt vmcnt(12)
	v_mul_f32_e32 v0, v39, v47
	v_mul_f32_e32 v1, v38, v47
	s_waitcnt vmcnt(11)
	v_mul_f32_e32 v2, v41, v49
	v_mul_f32_e32 v3, v40, v49
	v_fmac_f32_e32 v0, v38, v46
	v_fma_f32 v1, v39, v46, -v1
	v_fmac_f32_e32 v2, v40, v48
	v_fma_f32 v3, v41, v48, -v3
	v_add_u32_e32 v4, 0x1000, v16
	ds_write2_b64 v4, v[0:1], v[2:3] offset0:118 offset1:188
	s_waitcnt vmcnt(10)
	v_mul_f32_e32 v0, v43, v51
	v_mul_f32_e32 v1, v42, v51
	v_fmac_f32_e32 v0, v42, v50
	s_waitcnt vmcnt(6)
	v_mul_f32_e32 v2, v53, v60
	v_mul_f32_e32 v3, v52, v60
	v_fma_f32 v1, v43, v50, -v1
	v_fmac_f32_e32 v2, v52, v59
	v_fma_f32 v3, v53, v59, -v3
	v_add_u32_e32 v4, 0x1800, v16
	ds_write2_b64 v4, v[0:1], v[2:3] offset0:2 offset1:72
	s_waitcnt vmcnt(5)
	v_mul_f32_e32 v0, v55, v62
	v_mul_f32_e32 v1, v54, v62
	s_waitcnt vmcnt(4)
	v_mul_f32_e32 v2, v57, v64
	v_mul_f32_e32 v3, v56, v64
	v_fmac_f32_e32 v0, v54, v61
	v_fma_f32 v1, v55, v61, -v1
	v_fmac_f32_e32 v2, v56, v63
	v_fma_f32 v3, v57, v63, -v3
	ds_write2_b64 v4, v[0:1], v[2:3] offset0:142 offset1:212
	v_add_u32_e32 v4, 0x2000, v16
	s_waitcnt vmcnt(2)
	v_mul_f32_e32 v0, v37, v68
	v_mul_f32_e32 v1, v36, v68
	s_waitcnt vmcnt(0)
	v_mul_f32_e32 v2, v70, v72
	v_mul_f32_e32 v3, v69, v72
	v_fmac_f32_e32 v0, v36, v67
	v_fma_f32 v1, v37, v67, -v1
	v_fmac_f32_e32 v2, v69, v71
	v_fma_f32 v3, v70, v71, -v3
	ds_write2_b64 v4, v[0:1], v[2:3] offset0:26 offset1:96
.LBB0_3:
	s_or_b64 exec, exec, s[6:7]
	s_load_dwordx2 s[2:3], s[4:5], 0x20
	s_load_dwordx2 s[12:13], s[4:5], 0x8
	v_mov_b32_e32 v4, 0
	v_mov_b32_e32 v5, 0
	s_waitcnt lgkmcnt(0)
	s_barrier
	s_waitcnt lgkmcnt(0)
                                        ; implicit-def: $vgpr22
                                        ; implicit-def: $vgpr32
                                        ; implicit-def: $vgpr36
                                        ; implicit-def: $vgpr30
                                        ; implicit-def: $vgpr26
                                        ; implicit-def: $vgpr18
                                        ; implicit-def: $vgpr14
                                        ; implicit-def: $vgpr10
	s_and_saveexec_b64 s[4:5], s[0:1]
	s_cbranch_execz .LBB0_5
; %bb.4:
	v_lshl_add_u32 v0, v58, 3, v109
	v_add_u32_e32 v1, 0x800, v0
	ds_read2_b64 v[4:7], v0 offset1:70
	ds_read2_b64 v[8:11], v0 offset0:140 offset1:210
	ds_read2_b64 v[12:15], v1 offset0:24 offset1:94
	;; [unrolled: 1-line block ×3, first 2 shown]
	v_add_u32_e32 v1, 0x1000, v0
	ds_read2_b64 v[24:27], v1 offset0:48 offset1:118
	v_add_u32_e32 v1, 0x1400, v0
	ds_read2_b64 v[28:31], v1 offset0:60 offset1:130
	;; [unrolled: 2-line block ×4, first 2 shown]
	ds_read_b64 v[36:37], v0 offset:8960
.LBB0_5:
	s_or_b64 exec, exec, s[4:5]
	s_waitcnt lgkmcnt(0)
	v_sub_f32_e32 v90, v7, v37
	v_mul_f32_e32 v50, 0xbeb8f4ab, v90
	v_sub_f32_e32 v97, v9, v35
	v_add_f32_e32 v44, v36, v6
	v_sub_f32_e32 v98, v6, v36
	v_mov_b32_e32 v0, v50
	v_mul_f32_e32 v53, 0xbf2c7751, v97
	v_add_f32_e32 v45, v37, v7
	s_mov_b32 s6, 0x3f6eb680
	v_mul_f32_e32 v55, 0xbeb8f4ab, v98
	v_fmac_f32_e32 v0, 0x3f6eb680, v44
	v_add_f32_e32 v46, v34, v8
	v_sub_f32_e32 v104, v8, v34
	v_mov_b32_e32 v40, v53
	v_add_f32_e32 v0, v0, v4
	v_fma_f32 v1, v45, s6, -v55
	s_mov_b32 s7, 0x3f3d2fb0
	v_mul_f32_e32 v67, 0xbf2c7751, v90
	v_add_f32_e32 v47, v35, v9
	v_mul_f32_e32 v62, 0xbf2c7751, v104
	v_fmac_f32_e32 v40, 0x3f3d2fb0, v46
	v_add_f32_e32 v1, v1, v5
	v_mov_b32_e32 v2, v67
	v_add_f32_e32 v0, v40, v0
	v_fma_f32 v40, v47, s7, -v62
	v_mul_f32_e32 v72, 0xbf7ee86f, v97
	v_mul_f32_e32 v73, 0xbf2c7751, v98
	v_fmac_f32_e32 v2, 0x3f3d2fb0, v44
	v_add_f32_e32 v1, v40, v1
	v_mov_b32_e32 v40, v72
	v_add_f32_e32 v2, v2, v4
	v_fma_f32 v3, v45, s7, -v73
	v_mul_f32_e32 v79, 0xbf65296c, v90
	s_mov_b32 s16, 0x3dbcf732
	v_mul_f32_e32 v78, 0xbf7ee86f, v104
	v_fmac_f32_e32 v40, 0x3dbcf732, v46
	v_add_f32_e32 v3, v3, v5
	v_mov_b32_e32 v38, v79
	v_add_f32_e32 v2, v40, v2
	v_fma_f32 v40, v47, s16, -v78
	v_mul_f32_e32 v86, 0xbf4c4adb, v97
	s_mov_b32 s14, 0x3ee437d1
	v_mul_f32_e32 v87, 0xbf65296c, v98
	v_fmac_f32_e32 v38, 0x3ee437d1, v44
	v_add_f32_e32 v3, v40, v3
	v_mov_b32_e32 v40, v86
	v_add_f32_e32 v38, v38, v4
	v_fma_f32 v39, v45, s14, -v87
	s_mov_b32 s15, 0xbf1a4643
	v_mul_f32_e32 v94, 0xbf4c4adb, v104
	v_fmac_f32_e32 v40, 0xbf1a4643, v46
	v_sub_f32_e32 v103, v11, v33
	v_add_f32_e32 v39, v39, v5
	v_add_f32_e32 v38, v40, v38
	v_fma_f32 v40, v47, s15, -v94
	v_mul_f32_e32 v61, 0xbf65296c, v103
	v_add_f32_e32 v39, v40, v39
	v_add_f32_e32 v48, v32, v10
	v_sub_f32_e32 v113, v10, v32
	v_mov_b32_e32 v40, v61
	v_add_f32_e32 v49, v33, v11
	v_mul_f32_e32 v66, 0xbf65296c, v113
	v_fmac_f32_e32 v40, 0x3ee437d1, v48
	v_add_f32_e32 v0, v40, v0
	v_fma_f32 v40, v49, s14, -v66
	v_mul_f32_e32 v77, 0xbf4c4adb, v103
	v_add_f32_e32 v1, v40, v1
	v_mov_b32_e32 v40, v77
	v_mul_f32_e32 v84, 0xbf4c4adb, v113
	v_fmac_f32_e32 v40, 0xbf1a4643, v48
	v_add_f32_e32 v2, v40, v2
	v_fma_f32 v40, v49, s15, -v84
	v_mul_f32_e32 v93, 0x3e3c28d5, v103
	v_add_f32_e32 v3, v40, v3
	v_mov_b32_e32 v40, v93
	s_mov_b32 s17, 0xbf7ba420
	v_mul_f32_e32 v100, 0x3e3c28d5, v113
	v_fmac_f32_e32 v40, 0xbf7ba420, v48
	v_sub_f32_e32 v112, v13, v23
	v_add_f32_e32 v38, v40, v38
	v_fma_f32 v40, v49, s17, -v100
	v_mul_f32_e32 v65, 0xbf7ee86f, v112
	v_add_f32_e32 v39, v40, v39
	v_add_f32_e32 v51, v22, v12
	v_sub_f32_e32 v118, v12, v22
	v_mov_b32_e32 v40, v65
	v_add_f32_e32 v52, v23, v13
	v_mul_f32_e32 v71, 0xbf7ee86f, v118
	v_fmac_f32_e32 v40, 0x3dbcf732, v51
	v_add_f32_e32 v0, v40, v0
	v_fma_f32 v40, v52, s16, -v71
	v_mul_f32_e32 v83, 0xbe3c28d5, v112
	v_add_f32_e32 v1, v40, v1
	v_mov_b32_e32 v40, v83
	v_mul_f32_e32 v91, 0xbe3c28d5, v118
	v_fmac_f32_e32 v40, 0xbf7ba420, v51
	v_add_f32_e32 v2, v40, v2
	v_fma_f32 v40, v52, s17, -v91
	v_mul_f32_e32 v99, 0x3f763a35, v112
	v_add_f32_e32 v3, v40, v3
	v_mov_b32_e32 v40, v99
	s_mov_b32 s18, 0xbe8c1d8e
	v_mul_f32_e32 v107, 0x3f763a35, v118
	v_fmac_f32_e32 v40, 0xbe8c1d8e, v51
	v_sub_f32_e32 v117, v15, v21
	v_add_f32_e32 v38, v40, v38
	v_fma_f32 v40, v52, s18, -v107
	v_mul_f32_e32 v70, 0xbf763a35, v117
	v_add_f32_e32 v39, v40, v39
	v_add_f32_e32 v54, v20, v14
	v_sub_f32_e32 v122, v14, v20
	v_mov_b32_e32 v40, v70
	v_add_f32_e32 v59, v21, v15
	v_mul_f32_e32 v75, 0xbf763a35, v122
	v_fmac_f32_e32 v40, 0xbe8c1d8e, v54
	v_add_f32_e32 v0, v40, v0
	v_fma_f32 v40, v59, s18, -v75
	v_mul_f32_e32 v89, 0x3f06c442, v117
	v_add_f32_e32 v1, v40, v1
	v_mov_b32_e32 v40, v89
	s_mov_b32 s19, 0xbf59a7d5
	v_mul_f32_e32 v96, 0x3f06c442, v122
	v_fmac_f32_e32 v40, 0xbf59a7d5, v54
	v_add_f32_e32 v2, v40, v2
	v_fma_f32 v40, v59, s19, -v96
	v_mul_f32_e32 v105, 0x3f2c7751, v117
	v_add_f32_e32 v3, v40, v3
	v_mov_b32_e32 v40, v105
	v_mul_f32_e32 v115, 0x3f2c7751, v122
	v_fmac_f32_e32 v40, 0x3f3d2fb0, v54
	v_sub_f32_e32 v121, v17, v31
	v_add_f32_e32 v38, v40, v38
	v_fma_f32 v40, v59, s7, -v115
	v_mul_f32_e32 v76, 0xbf4c4adb, v121
	v_add_f32_e32 v39, v40, v39
	v_add_f32_e32 v60, v30, v16
	v_sub_f32_e32 v126, v16, v30
	v_mov_b32_e32 v40, v76
	v_add_f32_e32 v64, v31, v17
	v_mul_f32_e32 v81, 0xbf4c4adb, v126
	v_fmac_f32_e32 v40, 0xbf1a4643, v60
	v_add_f32_e32 v0, v40, v0
	v_fma_f32 v40, v64, s15, -v81
	v_mul_f32_e32 v95, 0x3f763a35, v121
	v_add_f32_e32 v1, v40, v1
	v_mov_b32_e32 v40, v95
	v_mul_f32_e32 v102, 0x3f763a35, v126
	v_fmac_f32_e32 v40, 0xbe8c1d8e, v60
	v_add_f32_e32 v2, v40, v2
	v_fma_f32 v40, v64, s18, -v102
	v_mul_f32_e32 v114, 0xbeb8f4ab, v121
	v_add_f32_e32 v3, v40, v3
	v_mov_b32_e32 v40, v114
	v_mul_f32_e32 v120, 0xbeb8f4ab, v126
	v_fmac_f32_e32 v40, 0x3f6eb680, v60
	v_sub_f32_e32 v125, v19, v29
	v_add_f32_e32 v38, v40, v38
	v_fma_f32 v40, v64, s6, -v120
	v_mul_f32_e32 v82, 0xbf06c442, v125
	v_add_f32_e32 v39, v40, v39
	v_add_f32_e32 v63, v28, v18
	v_sub_f32_e32 v130, v18, v28
	v_mov_b32_e32 v40, v82
	v_add_f32_e32 v69, v29, v19
	v_mul_f32_e32 v85, 0xbf06c442, v130
	v_fmac_f32_e32 v40, 0xbf59a7d5, v63
	v_add_f32_e32 v0, v40, v0
	v_fma_f32 v40, v69, s19, -v85
	v_mul_f32_e32 v101, 0x3f65296c, v125
	v_add_f32_e32 v1, v40, v1
	v_mov_b32_e32 v40, v101
	;; [unrolled: 25-line block ×3, first 2 shown]
	v_fmac_f32_e32 v0, 0x3f6eb680, v68
	v_mul_f32_e32 v123, 0xbf06c442, v128
	v_add_f32_e32 v0, v0, v40
	v_mov_b32_e32 v40, v123
	v_mul_f32_e32 v116, 0x3eb8f4ab, v129
	v_mul_f32_e32 v127, 0xbf06c442, v129
	v_fmac_f32_e32 v40, 0xbf59a7d5, v68
	v_fma_f32 v1, v74, s6, -v116
	v_add_f32_e32 v56, v40, v38
	v_fma_f32 v38, v74, s19, -v127
	v_add_f32_e32 v1, v1, v41
	v_add_f32_e32 v57, v38, v39
	s_barrier
	s_and_saveexec_b64 s[4:5], s[0:1]
	s_cbranch_execz .LBB0_7
; %bb.6:
	v_mul_f32_e32 v139, 0xbe8c1d8e, v45
	v_mov_b32_e32 v38, v139
	v_mul_f32_e32 v140, 0xbf59a7d5, v47
	v_fmac_f32_e32 v38, 0x3f763a35, v98
	v_mov_b32_e32 v39, v140
	v_add_f32_e32 v38, v38, v5
	v_fmac_f32_e32 v39, 0xbf06c442, v104
	v_mul_f32_e32 v141, 0x3f3d2fb0, v49
	v_add_f32_e32 v38, v39, v38
	v_mov_b32_e32 v39, v141
	v_fmac_f32_e32 v39, 0xbf2c7751, v113
	v_mul_f32_e32 v142, 0x3ee437d1, v52
	v_add_f32_e32 v38, v39, v38
	v_mov_b32_e32 v39, v142
	v_fmac_f32_e32 v39, 0x3f65296c, v118
	v_mul_f32_e32 v143, 0xbf7ba420, v59
	v_add_f32_e32 v38, v39, v38
	v_mov_b32_e32 v39, v143
	v_fmac_f32_e32 v39, 0x3e3c28d5, v122
	v_mul_f32_e32 v144, 0x3dbcf732, v64
	v_add_f32_e32 v38, v39, v38
	v_mov_b32_e32 v39, v144
	v_fmac_f32_e32 v39, 0xbf7ee86f, v126
	v_mul_f32_e32 v145, 0x3f6eb680, v69
	v_add_f32_e32 v38, v39, v38
	v_mov_b32_e32 v39, v145
	v_fmac_f32_e32 v39, 0x3eb8f4ab, v130
	v_mul_f32_e32 v146, 0xbf763a35, v90
	v_add_f32_e32 v38, v39, v38
	v_mov_b32_e32 v39, v146
	v_mul_f32_e32 v147, 0x3f06c442, v97
	v_fmac_f32_e32 v39, 0xbe8c1d8e, v44
	v_mov_b32_e32 v40, v147
	v_add_f32_e32 v39, v39, v4
	v_fmac_f32_e32 v40, 0xbf59a7d5, v46
	v_mul_f32_e32 v148, 0x3f2c7751, v103
	v_add_f32_e32 v39, v40, v39
	v_mov_b32_e32 v40, v148
	v_fmac_f32_e32 v40, 0x3f3d2fb0, v48
	v_mul_f32_e32 v149, 0xbf65296c, v112
	v_add_f32_e32 v39, v40, v39
	v_mov_b32_e32 v40, v149
	v_fmac_f32_e32 v40, 0x3ee437d1, v51
	v_mul_f32_e32 v150, 0xbe3c28d5, v117
	v_add_f32_e32 v39, v40, v39
	v_mov_b32_e32 v40, v150
	v_fmac_f32_e32 v40, 0xbf7ba420, v54
	v_mul_f32_e32 v151, 0x3f7ee86f, v121
	v_add_f32_e32 v39, v40, v39
	v_mov_b32_e32 v40, v151
	v_fmac_f32_e32 v40, 0x3dbcf732, v60
	v_mul_f32_e32 v152, 0xbeb8f4ab, v125
	v_add_f32_e32 v39, v40, v39
	v_mov_b32_e32 v40, v152
	v_fmac_f32_e32 v40, 0x3f6eb680, v63
	v_mul_f32_e32 v153, 0xbf1a4643, v74
	v_add_f32_e32 v40, v40, v39
	v_mov_b32_e32 v39, v153
	v_fmac_f32_e32 v39, 0x3f4c4adb, v129
	v_mul_f32_e32 v154, 0xbf4c4adb, v128
	v_add_f32_e32 v39, v39, v38
	v_mov_b32_e32 v38, v154
	v_fmac_f32_e32 v38, 0xbf1a4643, v68
	v_mul_f32_e32 v137, 0xbf1a4643, v45
	v_add_f32_e32 v38, v38, v40
	v_mov_b32_e32 v40, v137
	v_mul_f32_e32 v138, 0xbe8c1d8e, v47
	v_fmac_f32_e32 v40, 0x3f4c4adb, v98
	v_mov_b32_e32 v41, v138
	v_add_f32_e32 v40, v40, v5
	v_fmac_f32_e32 v41, 0xbf763a35, v104
	v_mul_f32_e32 v155, 0x3f6eb680, v49
	v_add_f32_e32 v40, v41, v40
	v_mov_b32_e32 v41, v155
	v_fmac_f32_e32 v41, 0x3eb8f4ab, v113
	v_mul_f32_e32 v156, 0xbf59a7d5, v52
	v_add_f32_e32 v40, v41, v40
	v_mov_b32_e32 v41, v156
	v_fmac_f32_e32 v41, 0x3f06c442, v118
	v_mul_f32_e32 v157, 0x3dbcf732, v59
	v_add_f32_e32 v40, v41, v40
	v_mov_b32_e32 v41, v157
	v_fmac_f32_e32 v41, 0xbf7ee86f, v122
	v_mul_f32_e32 v158, 0x3f3d2fb0, v64
	v_add_f32_e32 v40, v41, v40
	v_mov_b32_e32 v41, v158
	v_fmac_f32_e32 v41, 0x3f2c7751, v126
	v_mul_f32_e32 v159, 0xbf7ba420, v69
	v_add_f32_e32 v40, v41, v40
	v_mov_b32_e32 v41, v159
	v_fmac_f32_e32 v41, 0x3e3c28d5, v130
	v_mul_f32_e32 v160, 0xbf4c4adb, v90
	v_add_f32_e32 v40, v41, v40
	v_mov_b32_e32 v41, v160
	v_mul_f32_e32 v161, 0x3f763a35, v97
	v_fmac_f32_e32 v41, 0xbf1a4643, v44
	v_mov_b32_e32 v42, v161
	v_add_f32_e32 v41, v41, v4
	v_fmac_f32_e32 v42, 0xbe8c1d8e, v46
	v_mul_f32_e32 v162, 0xbeb8f4ab, v103
	v_add_f32_e32 v41, v42, v41
	v_mov_b32_e32 v42, v162
	v_fmac_f32_e32 v42, 0x3f6eb680, v48
	v_mul_f32_e32 v163, 0xbf06c442, v112
	v_add_f32_e32 v41, v42, v41
	v_mov_b32_e32 v42, v163
	v_fmac_f32_e32 v42, 0xbf59a7d5, v51
	v_mul_f32_e32 v164, 0x3f7ee86f, v117
	v_add_f32_e32 v41, v42, v41
	v_mov_b32_e32 v42, v164
	v_fmac_f32_e32 v42, 0x3dbcf732, v54
	v_mul_f32_e32 v165, 0xbf2c7751, v121
	v_add_f32_e32 v41, v42, v41
	v_mov_b32_e32 v42, v165
	v_fmac_f32_e32 v42, 0x3f3d2fb0, v60
	v_mul_f32_e32 v166, 0xbe3c28d5, v125
	v_add_f32_e32 v41, v42, v41
	v_mov_b32_e32 v42, v166
	v_fmac_f32_e32 v42, 0xbf7ba420, v63
	v_mul_f32_e32 v167, 0x3ee437d1, v74
	v_add_f32_e32 v42, v42, v41
	v_mov_b32_e32 v41, v167
	v_fmac_f32_e32 v41, 0xbf65296c, v129
	v_mul_f32_e32 v168, 0x3f65296c, v128
	v_add_f32_e32 v41, v41, v40
	v_mov_b32_e32 v40, v168
	v_fmac_f32_e32 v40, 0x3ee437d1, v68
	v_mul_f32_e32 v135, 0xbf59a7d5, v45
	v_add_f32_e32 v40, v40, v42
	;; [unrolled: 64-line block ×3, first 2 shown]
	v_mov_b32_e32 v131, v133
	v_mul_f32_e32 v134, 0x3f6eb680, v47
	v_fmac_f32_e32 v131, 0x3e3c28d5, v98
	v_mov_b32_e32 v132, v134
	v_add_f32_e32 v131, v131, v5
	v_fmac_f32_e32 v132, 0xbeb8f4ab, v104
	v_mul_f32_e32 v183, 0xbf59a7d5, v49
	v_fmac_f32_e32 v139, 0xbf763a35, v98
	v_add_f32_e32 v131, v132, v131
	v_mov_b32_e32 v132, v183
	v_add_f32_e32 v139, v139, v5
	v_fmac_f32_e32 v140, 0x3f06c442, v104
	v_fmac_f32_e32 v132, 0x3f06c442, v113
	v_mul_f32_e32 v184, 0x3f3d2fb0, v52
	v_add_f32_e32 v139, v140, v139
	v_fmac_f32_e32 v141, 0x3f2c7751, v113
	v_fma_f32 v140, v44, s18, -v146
	v_add_f32_e32 v131, v132, v131
	v_mov_b32_e32 v132, v184
	v_add_f32_e32 v139, v141, v139
	v_add_f32_e32 v140, v140, v4
	v_fma_f32 v141, v46, s19, -v147
	v_fmac_f32_e32 v132, 0xbf2c7751, v118
	v_mul_f32_e32 v185, 0xbf1a4643, v59
	v_fmac_f32_e32 v142, 0xbf65296c, v118
	v_add_f32_e32 v140, v141, v140
	v_fma_f32 v141, v48, s7, -v148
	v_add_f32_e32 v131, v132, v131
	v_mov_b32_e32 v132, v185
	v_add_f32_e32 v139, v142, v139
	v_fmac_f32_e32 v143, 0xbe3c28d5, v122
	v_add_f32_e32 v140, v141, v140
	v_fma_f32 v141, v51, s14, -v149
	v_fmac_f32_e32 v132, 0x3f4c4adb, v122
	v_mul_f32_e32 v186, 0x3ee437d1, v64
	v_add_f32_e32 v139, v143, v139
	v_fmac_f32_e32 v144, 0x3f7ee86f, v126
	v_add_f32_e32 v140, v141, v140
	v_fma_f32 v141, v54, s17, -v150
	v_add_f32_e32 v131, v132, v131
	v_mov_b32_e32 v132, v186
	v_add_f32_e32 v139, v144, v139
	v_fmac_f32_e32 v145, 0xbeb8f4ab, v130
	v_add_f32_e32 v140, v141, v140
	v_fma_f32 v141, v60, s16, -v151
	v_fmac_f32_e32 v132, 0xbf65296c, v126
	v_mul_f32_e32 v187, 0xbe8c1d8e, v69
	v_add_f32_e32 v139, v145, v139
	v_add_f32_e32 v140, v141, v140
	v_fma_f32 v141, v63, s6, -v152
	v_fmac_f32_e32 v153, 0xbf4c4adb, v129
	v_add_f32_e32 v131, v132, v131
	v_mov_b32_e32 v132, v187
	v_add_f32_e32 v141, v141, v140
	v_add_f32_e32 v140, v153, v139
	v_fma_f32 v139, v68, s15, -v154
	v_fmac_f32_e32 v132, 0x3f763a35, v130
	v_mul_f32_e32 v188, 0xbe3c28d5, v90
	v_add_f32_e32 v139, v139, v141
	v_mul_f32_e32 v141, 0xbf7ee86f, v98
	v_add_f32_e32 v131, v132, v131
	v_mov_b32_e32 v132, v188
	v_mul_f32_e32 v189, 0x3eb8f4ab, v97
	v_fmac_f32_e32 v133, 0xbe3c28d5, v98
	v_fmac_f32_e32 v134, 0x3eb8f4ab, v104
	;; [unrolled: 1-line block ×6, first 2 shown]
	v_mov_b32_e32 v98, v141
	v_mul_f32_e32 v104, 0xbe3c28d5, v104
	v_fmac_f32_e32 v132, 0xbf7ba420, v44
	v_mov_b32_e32 v190, v189
	v_fmac_f32_e32 v98, 0x3dbcf732, v45
	v_mov_b32_e32 v142, v104
	v_add_f32_e32 v132, v132, v4
	v_fmac_f32_e32 v190, 0x3f6eb680, v46
	v_fmac_f32_e32 v183, 0xbf06c442, v113
	;; [unrolled: 1-line block ×4, first 2 shown]
	v_add_f32_e32 v98, v98, v5
	v_fmac_f32_e32 v142, 0xbf7ba420, v47
	v_mul_f32_e32 v113, 0x3f763a35, v113
	v_add_f32_e32 v132, v190, v132
	v_mul_f32_e32 v190, 0xbf06c442, v103
	v_add_f32_e32 v98, v142, v98
	v_mov_b32_e32 v142, v113
	v_mov_b32_e32 v191, v190
	v_fmac_f32_e32 v184, 0x3f2c7751, v118
	v_fmac_f32_e32 v170, 0x3f4c4adb, v118
	;; [unrolled: 1-line block ×4, first 2 shown]
	v_mul_f32_e32 v118, 0x3eb8f4ab, v118
	v_fmac_f32_e32 v191, 0xbf59a7d5, v48
	v_add_f32_e32 v98, v142, v98
	v_mov_b32_e32 v142, v118
	v_add_f32_e32 v132, v191, v132
	v_mul_f32_e32 v191, 0x3f2c7751, v112
	v_fmac_f32_e32 v185, 0xbf4c4adb, v122
	v_fmac_f32_e32 v171, 0xbeb8f4ab, v122
	v_fmac_f32_e32 v157, 0x3f7ee86f, v122
	v_fmac_f32_e32 v142, 0x3f6eb680, v52
	v_mul_f32_e32 v122, 0xbf65296c, v122
	v_mov_b32_e32 v192, v191
	v_add_f32_e32 v98, v142, v98
	v_mov_b32_e32 v142, v122
	v_fmac_f32_e32 v192, 0x3f3d2fb0, v51
	v_fmac_f32_e32 v186, 0x3f65296c, v126
	;; [unrolled: 1-line block ×5, first 2 shown]
	v_mul_f32_e32 v126, 0xbf06c442, v126
	v_add_f32_e32 v132, v192, v132
	v_mul_f32_e32 v192, 0xbf4c4adb, v117
	v_add_f32_e32 v98, v142, v98
	v_mov_b32_e32 v142, v126
	v_mov_b32_e32 v193, v192
	v_fmac_f32_e32 v187, 0xbf763a35, v130
	v_fmac_f32_e32 v173, 0x3f2c7751, v130
	;; [unrolled: 1-line block ×4, first 2 shown]
	v_mul_f32_e32 v130, 0x3f4c4adb, v130
	v_fmac_f32_e32 v193, 0xbf1a4643, v54
	v_add_f32_e32 v98, v142, v98
	v_mov_b32_e32 v142, v130
	v_add_f32_e32 v132, v193, v132
	v_mul_f32_e32 v193, 0x3f65296c, v121
	v_fmac_f32_e32 v142, 0xbf1a4643, v69
	v_mul_f32_e32 v90, 0xbf7ee86f, v90
	v_mov_b32_e32 v194, v193
	v_add_f32_e32 v98, v142, v98
	v_fma_f32 v142, v44, s16, -v90
	v_mul_f32_e32 v143, 0xbe3c28d5, v97
	v_fmac_f32_e32 v194, 0x3ee437d1, v60
	v_add_f32_e32 v142, v142, v4
	v_fma_f32 v97, v46, s17, -v143
	v_mul_f32_e32 v103, 0x3f763a35, v103
	v_add_f32_e32 v132, v194, v132
	v_mul_f32_e32 v194, 0xbf763a35, v125
	v_add_f32_e32 v97, v97, v142
	v_fma_f32 v142, v48, s18, -v103
	v_mul_f32_e32 v112, 0x3eb8f4ab, v112
	v_mov_b32_e32 v195, v194
	v_add_f32_e32 v97, v142, v97
	v_fma_f32 v142, v51, s6, -v112
	v_mul_f32_e32 v117, 0xbf65296c, v117
	v_fmac_f32_e32 v195, 0xbe8c1d8e, v63
	v_mul_f32_e32 v196, 0x3dbcf732, v74
	v_add_f32_e32 v97, v142, v97
	v_fma_f32 v142, v54, s14, -v117
	v_mul_f32_e32 v121, 0xbf06c442, v121
	v_add_f32_e32 v195, v195, v132
	v_mov_b32_e32 v132, v196
	v_add_f32_e32 v97, v142, v97
	v_fma_f32 v142, v60, s19, -v121
	v_mul_f32_e32 v125, 0x3f4c4adb, v125
	v_fmac_f32_e32 v132, 0xbf7ee86f, v129
	v_fmac_f32_e32 v196, 0x3f7ee86f, v129
	;; [unrolled: 1-line block ×4, first 2 shown]
	v_add_f32_e32 v97, v142, v97
	v_fma_f32 v142, v63, s15, -v125
	v_mul_f32_e32 v129, 0x3f2c7751, v129
	v_add_f32_e32 v97, v142, v97
	v_mov_b32_e32 v142, v129
	v_mul_f32_e32 v197, 0x3f7ee86f, v128
	v_fmac_f32_e32 v142, 0x3f3d2fb0, v74
	v_mul_f32_e32 v128, 0x3f2c7751, v128
	v_add_f32_e32 v98, v142, v98
	v_fma_f32 v142, v68, s7, -v128
	v_add_f32_e32 v97, v142, v97
	v_mul_f32_e32 v142, 0x3ee437d1, v45
	v_add_f32_e32 v87, v87, v142
	v_mul_f32_e32 v142, 0xbf1a4643, v47
	v_add_f32_e32 v94, v94, v142
	v_add_f32_e32 v87, v87, v5
	;; [unrolled: 1-line block ×3, first 2 shown]
	v_mul_f32_e32 v94, 0xbf7ba420, v49
	v_add_f32_e32 v94, v100, v94
	v_mul_f32_e32 v100, 0x3ee437d1, v44
	v_sub_f32_e32 v79, v100, v79
	v_mul_f32_e32 v100, 0xbf1a4643, v46
	v_sub_f32_e32 v86, v100, v86
	v_add_f32_e32 v79, v79, v4
	v_add_f32_e32 v79, v86, v79
	v_mul_f32_e32 v86, 0xbf7ba420, v48
	v_sub_f32_e32 v86, v86, v93
	v_add_f32_e32 v79, v86, v79
	v_mul_f32_e32 v86, 0xbe8c1d8e, v51
	v_sub_f32_e32 v86, v86, v99
	;; [unrolled: 3-line block ×6, first 2 shown]
	v_add_f32_e32 v86, v86, v79
	v_mul_f32_e32 v79, 0x3f3d2fb0, v45
	v_add_f32_e32 v73, v73, v79
	v_mul_f32_e32 v79, 0x3dbcf732, v47
	;; [unrolled: 2-line block ×3, first 2 shown]
	v_sub_f32_e32 v67, v79, v67
	v_mul_f32_e32 v79, 0x3dbcf732, v46
	v_sub_f32_e32 v72, v79, v72
	v_add_f32_e32 v67, v67, v4
	v_add_f32_e32 v67, v72, v67
	v_mul_f32_e32 v72, 0xbf1a4643, v48
	v_sub_f32_e32 v72, v72, v77
	v_add_f32_e32 v67, v72, v67
	v_mul_f32_e32 v72, 0xbf7ba420, v51
	v_sub_f32_e32 v72, v72, v83
	;; [unrolled: 3-line block ×3, first 2 shown]
	v_add_f32_e32 v73, v73, v5
	v_add_f32_e32 v67, v72, v67
	v_mul_f32_e32 v72, 0xbe8c1d8e, v60
	v_add_f32_e32 v73, v78, v73
	v_mul_f32_e32 v78, 0xbf1a4643, v49
	v_sub_f32_e32 v72, v72, v95
	v_add_f32_e32 v78, v84, v78
	v_add_f32_e32 v67, v72, v67
	v_mul_f32_e32 v72, 0x3ee437d1, v63
	v_add_f32_e32 v73, v78, v73
	v_mul_f32_e32 v78, 0xbf7ba420, v52
	v_sub_f32_e32 v72, v72, v101
	;; [unrolled: 6-line block ×3, first 2 shown]
	v_add_f32_e32 v78, v96, v78
	v_add_f32_e32 v72, v72, v67
	v_mul_f32_e32 v67, 0x3f6eb680, v45
	v_add_f32_e32 v7, v7, v5
	v_add_f32_e32 v6, v6, v4
	;; [unrolled: 1-line block ×3, first 2 shown]
	v_mul_f32_e32 v78, 0xbe8c1d8e, v64
	v_add_f32_e32 v55, v55, v67
	v_mul_f32_e32 v67, 0x3f3d2fb0, v47
	v_add_f32_e32 v7, v9, v7
	v_add_f32_e32 v6, v8, v6
	;; [unrolled: 1-line block ×8, first 2 shown]
	v_mul_f32_e32 v78, 0x3ee437d1, v69
	v_add_f32_e32 v55, v62, v55
	v_mul_f32_e32 v62, 0x3ee437d1, v49
	v_add_f32_e32 v7, v13, v7
	v_add_f32_e32 v6, v12, v6
	;; [unrolled: 1-line block ×7, first 2 shown]
	v_mul_f32_e32 v78, 0x3f6eb680, v74
	v_add_f32_e32 v55, v62, v55
	v_mul_f32_e32 v62, 0x3dbcf732, v52
	v_add_f32_e32 v7, v17, v7
	v_add_f32_e32 v6, v16, v6
	v_add_f32_e32 v87, v94, v87
	v_mul_f32_e32 v94, 0xbe8c1d8e, v52
	v_add_f32_e32 v78, v116, v78
	v_mul_f32_e32 v77, 0x3f6eb680, v44
	v_add_f32_e32 v62, v71, v62
	v_add_f32_e32 v7, v19, v7
	;; [unrolled: 1-line block ×3, first 2 shown]
	v_fma_f32 v8, v45, s16, -v141
	v_add_f32_e32 v133, v133, v5
	v_add_f32_e32 v135, v135, v5
	;; [unrolled: 1-line block ×5, first 2 shown]
	v_mul_f32_e32 v78, 0x3f3d2fb0, v46
	v_add_f32_e32 v55, v62, v55
	v_mul_f32_e32 v62, 0xbe8c1d8e, v59
	v_sub_f32_e32 v50, v77, v50
	v_add_f32_e32 v7, v25, v7
	v_add_f32_e32 v6, v24, v6
	;; [unrolled: 1-line block ×3, first 2 shown]
	v_fma_f32 v8, v47, s17, -v104
	v_add_f32_e32 v133, v134, v133
	v_fma_f32 v134, v44, s17, -v188
	v_add_f32_e32 v135, v136, v135
	;; [unrolled: 2-line block ×4, first 2 shown]
	v_mul_f32_e32 v94, 0x3f3d2fb0, v59
	v_mul_f32_e32 v67, 0x3ee437d1, v48
	v_add_f32_e32 v62, v75, v62
	v_add_f32_e32 v50, v50, v4
	v_sub_f32_e32 v53, v78, v53
	v_add_f32_e32 v7, v27, v7
	v_add_f32_e32 v6, v26, v6
	;; [unrolled: 1-line block ×3, first 2 shown]
	v_fma_f32 v8, v49, s18, -v113
	v_fmac_f32_e32 v90, 0x3dbcf732, v44
	v_add_f32_e32 v133, v183, v133
	v_add_f32_e32 v134, v134, v4
	v_fma_f32 v183, v46, s6, -v189
	v_add_f32_e32 v135, v169, v135
	v_add_f32_e32 v136, v136, v4
	v_fma_f32 v169, v46, s14, -v175
	;; [unrolled: 3-line block ×3, first 2 shown]
	v_add_f32_e32 v94, v115, v94
	v_mul_f32_e32 v66, 0x3dbcf732, v51
	v_add_f32_e32 v55, v62, v55
	v_mul_f32_e32 v62, 0xbf1a4643, v64
	v_add_f32_e32 v50, v53, v50
	v_sub_f32_e32 v53, v67, v61
	v_add_f32_e32 v7, v29, v7
	v_add_f32_e32 v6, v28, v6
	;; [unrolled: 1-line block ×3, first 2 shown]
	v_fma_f32 v8, v52, s6, -v118
	v_add_f32_e32 v4, v90, v4
	v_fmac_f32_e32 v143, 0xbf7ba420, v46
	v_add_f32_e32 v134, v183, v134
	v_fma_f32 v183, v48, s19, -v190
	v_add_f32_e32 v136, v169, v136
	v_fma_f32 v169, v48, s16, -v176
	;; [unrolled: 2-line block ×3, first 2 shown]
	v_add_f32_e32 v87, v94, v87
	v_mul_f32_e32 v94, 0x3f6eb680, v64
	v_mul_f32_e32 v71, 0xbe8c1d8e, v54
	v_add_f32_e32 v62, v81, v62
	v_add_f32_e32 v50, v53, v50
	v_sub_f32_e32 v53, v66, v65
	v_add_f32_e32 v7, v31, v7
	v_add_f32_e32 v6, v30, v6
	v_add_f32_e32 v5, v8, v5
	v_fma_f32 v8, v59, s14, -v122
	v_add_f32_e32 v4, v143, v4
	v_fmac_f32_e32 v103, 0xbe8c1d8e, v48
	v_add_f32_e32 v133, v184, v133
	v_add_f32_e32 v134, v183, v134
	v_fma_f32 v183, v51, s7, -v191
	v_add_f32_e32 v135, v170, v135
	v_add_f32_e32 v136, v169, v136
	v_fma_f32 v169, v51, s15, -v177
	;; [unrolled: 3-line block ×3, first 2 shown]
	v_add_f32_e32 v94, v120, v94
	v_mul_f32_e32 v75, 0xbf1a4643, v60
	v_add_f32_e32 v55, v62, v55
	v_mul_f32_e32 v62, 0xbf59a7d5, v69
	v_add_f32_e32 v50, v53, v50
	v_sub_f32_e32 v53, v71, v70
	v_add_f32_e32 v7, v21, v7
	v_add_f32_e32 v6, v20, v6
	;; [unrolled: 1-line block ×3, first 2 shown]
	v_fma_f32 v8, v64, s19, -v126
	v_add_f32_e32 v4, v103, v4
	v_fmac_f32_e32 v112, 0x3f6eb680, v51
	v_add_f32_e32 v133, v185, v133
	v_add_f32_e32 v134, v183, v134
	v_fma_f32 v183, v54, s15, -v192
	v_add_f32_e32 v135, v171, v135
	v_add_f32_e32 v136, v169, v136
	v_fma_f32 v169, v54, s6, -v178
	;; [unrolled: 3-line block ×3, first 2 shown]
	v_add_f32_e32 v87, v94, v87
	v_mul_f32_e32 v94, 0x3dbcf732, v69
	v_mul_f32_e32 v79, 0xbf59a7d5, v63
	v_add_f32_e32 v62, v85, v62
	v_add_f32_e32 v50, v53, v50
	v_sub_f32_e32 v53, v75, v76
	v_add_f32_e32 v7, v23, v7
	v_add_f32_e32 v6, v22, v6
	;; [unrolled: 1-line block ×3, first 2 shown]
	v_fma_f32 v8, v69, s15, -v130
	v_add_f32_e32 v4, v112, v4
	v_fmac_f32_e32 v117, 0x3ee437d1, v54
	v_add_f32_e32 v133, v186, v133
	v_add_f32_e32 v134, v183, v134
	v_fma_f32 v183, v60, s14, -v193
	v_add_f32_e32 v135, v172, v135
	v_add_f32_e32 v136, v169, v136
	v_fma_f32 v169, v60, s17, -v179
	;; [unrolled: 3-line block ×3, first 2 shown]
	v_add_f32_e32 v94, v124, v94
	v_mul_f32_e32 v81, 0xbf7ba420, v68
	v_add_f32_e32 v55, v62, v55
	v_mul_f32_e32 v62, 0xbf7ba420, v74
	v_add_f32_e32 v50, v53, v50
	v_sub_f32_e32 v53, v79, v82
	v_add_f32_e32 v7, v33, v7
	v_add_f32_e32 v6, v32, v6
	v_add_f32_e32 v5, v8, v5
	v_fma_f32 v8, v74, s7, -v129
	v_add_f32_e32 v4, v117, v4
	v_fmac_f32_e32 v121, 0xbf59a7d5, v60
	v_add_f32_e32 v132, v132, v131
	v_mov_b32_e32 v131, v197
	v_add_f32_e32 v133, v187, v133
	v_add_f32_e32 v134, v183, v134
	v_fma_f32 v183, v63, s18, -v194
	v_add_f32_e32 v135, v173, v135
	v_add_f32_e32 v136, v169, v136
	v_fma_f32 v169, v63, s7, -v180
	;; [unrolled: 3-line block ×3, first 2 shown]
	v_add_f32_e32 v87, v94, v87
	v_mul_f32_e32 v94, 0xbf59a7d5, v74
	v_add_f32_e32 v62, v92, v62
	v_add_f32_e32 v50, v53, v50
	v_sub_f32_e32 v53, v81, v88
	v_add_f32_e32 v7, v35, v7
	v_add_f32_e32 v6, v34, v6
	;; [unrolled: 1-line block ×4, first 2 shown]
	v_fmac_f32_e32 v125, 0xbf1a4643, v63
	v_mul_lo_u16_e32 v8, 17, v110
	v_fmac_f32_e32 v131, 0x3dbcf732, v68
	v_add_f32_e32 v183, v183, v134
	v_add_f32_e32 v134, v196, v133
	v_fma_f32 v133, v68, s16, -v197
	v_add_f32_e32 v169, v169, v136
	v_add_f32_e32 v136, v181, v135
	v_fma_f32 v135, v68, s18, -v182
	;; [unrolled: 3-line block ×3, first 2 shown]
	v_add_f32_e32 v94, v127, v94
	v_add_f32_e32 v62, v62, v55
	;; [unrolled: 1-line block ×6, first 2 shown]
	v_fmac_f32_e32 v128, 0x3f3d2fb0, v68
	v_add_lshl_u32 v8, v58, v8, 3
	v_add_f32_e32 v131, v131, v195
	v_add_f32_e32 v133, v133, v183
	;; [unrolled: 1-line block ×6, first 2 shown]
	ds_write2_b64 v8, v[6:7], v[61:62] offset1:1
	ds_write2_b64 v8, v[72:73], v[86:87] offset0:2 offset1:3
	ds_write2_b64 v8, v[97:98], v[139:140] offset0:4 offset1:5
	;; [unrolled: 1-line block ×7, first 2 shown]
	ds_write_b64 v8, v[2:3] offset:128
.LBB0_7:
	s_or_b64 exec, exec, s[4:5]
	s_load_dwordx4 s[4:7], s[2:3], 0x0
	s_movk_i32 s2, 0x154
	v_add_co_u32_e32 v9, vcc, s2, v110
	s_movk_i32 s2, 0x1a9
	v_add_co_u32_e32 v10, vcc, s2, v110
	;; [unrolled: 2-line block ×3, first 2 shown]
	s_movk_i32 s2, 0xf1
	v_mul_lo_u16_sdwa v7, v110, s2 dst_sel:DWORD dst_unused:UNUSED_PAD src0_sel:BYTE_0 src1_sel:DWORD
	v_add_u16_e32 v5, 0x55, v110
	v_lshrrev_b16_e32 v40, 12, v7
	v_mul_lo_u16_sdwa v6, v5, s2 dst_sel:DWORD dst_unused:UNUSED_PAD src0_sel:BYTE_0 src1_sel:DWORD
	v_mul_lo_u16_e32 v4, 17, v40
	v_lshrrev_b16_e32 v42, 12, v6
	v_sub_u16_e32 v41, v110, v4
	v_mul_lo_u16_e32 v4, 17, v42
	v_add_u16_e32 v59, 0xaa, v110
	v_sub_u16_e32 v43, v5, v4
	v_mul_lo_u16_sdwa v4, v59, s2 dst_sel:DWORD dst_unused:UNUSED_PAD src0_sel:BYTE_0 src1_sel:DWORD
	v_lshrrev_b16_e32 v44, 12, v4
	v_add_co_u32_e32 v8, vcc, 0xff, v110
	v_mul_lo_u16_e32 v15, 17, v44
	s_mov_b32 s2, 0xf0f1
	v_mov_b32_e32 v12, 3
	v_sub_u16_e32 v45, v59, v15
	v_mul_u32_u24_sdwa v15, v8, s2 dst_sel:DWORD dst_unused:UNUSED_PAD src0_sel:WORD_0 src1_sel:DWORD
	v_lshlrev_b32_sdwa v13, v12, v41 dst_sel:DWORD dst_unused:UNUSED_PAD src0_sel:DWORD src1_sel:BYTE_0
	v_lshlrev_b32_sdwa v14, v12, v43 dst_sel:DWORD dst_unused:UNUSED_PAD src0_sel:DWORD src1_sel:BYTE_0
	v_lshlrev_b32_sdwa v12, v12, v45 dst_sel:DWORD dst_unused:UNUSED_PAD src0_sel:DWORD src1_sel:BYTE_0
	v_lshrrev_b32_e32 v46, 20, v15
	s_waitcnt lgkmcnt(0)
	s_barrier
	global_load_dwordx2 v[87:88], v13, s[12:13]
	global_load_dwordx2 v[83:84], v12, s[12:13]
	v_mul_lo_u16_e32 v13, 17, v46
	v_sub_u16_e32 v47, v8, v13
	v_lshlrev_b32_e32 v8, 3, v47
	global_load_dwordx2 v[81:82], v8, s[12:13]
	v_mul_u32_u24_sdwa v8, v9, s2 dst_sel:DWORD dst_unused:UNUSED_PAD src0_sel:WORD_0 src1_sel:DWORD
	v_lshrrev_b32_e32 v48, 20, v8
	v_mul_lo_u16_e32 v8, 17, v48
	v_sub_u16_e32 v49, v9, v8
	v_mul_u32_u24_sdwa v9, v10, s2 dst_sel:DWORD dst_unused:UNUSED_PAD src0_sel:WORD_0 src1_sel:DWORD
	v_lshrrev_b32_e32 v50, 20, v9
	v_mul_lo_u16_e32 v9, 17, v50
	v_lshlrev_b32_e32 v8, 3, v49
	v_sub_u16_e32 v51, v10, v9
	v_mul_u32_u24_sdwa v9, v11, s2 dst_sel:DWORD dst_unused:UNUSED_PAD src0_sel:WORD_0 src1_sel:DWORD
	global_load_dwordx2 v[85:86], v14, s[12:13]
	global_load_dwordx2 v[89:90], v8, s[12:13]
	v_lshlrev_b32_e32 v8, 3, v51
	v_lshrrev_b32_e32 v52, 20, v9
	global_load_dwordx2 v[93:94], v8, s[12:13]
	v_mul_lo_u16_e32 v8, 17, v52
	v_sub_u16_e32 v53, v11, v8
	v_lshlrev_b32_e32 v8, 3, v53
	global_load_dwordx2 v[91:92], v8, s[12:13]
	v_add_lshl_u32 v112, v58, v110, 3
	v_add_u32_e32 v54, 0xc00, v112
	v_add_u32_e32 v20, 0x1000, v112
	;; [unrolled: 1-line block ×3, first 2 shown]
	ds_read2_b64 v[8:11], v112 offset1:85
	ds_read2_b64 v[12:15], v112 offset0:170 offset1:255
	v_add_u32_e32 v28, 0x800, v112
	v_add_u32_e32 v55, 0x1c00, v112
	ds_read2_b64 v[16:19], v54 offset0:126 offset1:211
	ds_read2_b64 v[20:23], v20 offset0:168 offset1:253
	;; [unrolled: 1-line block ×5, first 2 shown]
	s_waitcnt vmcnt(0) lgkmcnt(0)
	s_barrier
	s_movk_i32 s2, 0x44
	v_cmp_gt_u16_e64 s[2:3], s2, v110
	v_mul_f32_e32 v29, v18, v88
	v_mul_f32_e32 v28, v19, v88
	;; [unrolled: 1-line block ×3, first 2 shown]
	v_fmac_f32_e32 v29, v19, v87
	v_mul_f32_e32 v61, v22, v84
	v_fma_f32 v22, v22, v83, -v60
	v_mul_f32_e32 v62, v25, v82
	v_fma_f32 v18, v18, v87, -v28
	v_sub_f32_e32 v18, v8, v18
	v_fma_f32 v8, v8, 2.0, -v18
	v_fma_f32 v28, v24, v81, -v62
	v_fmac_f32_e32 v61, v23, v83
	v_sub_f32_e32 v22, v12, v22
	v_sub_f32_e32 v23, v13, v61
	v_fma_f32 v12, v12, 2.0, -v22
	v_fma_f32 v13, v13, 2.0, -v23
	v_mul_f32_e32 v38, v21, v86
	v_mul_f32_e32 v19, v27, v90
	v_fma_f32 v60, v26, v89, -v19
	v_mul_f32_e32 v39, v20, v86
	v_mul_f32_e32 v19, v35, v94
	v_fma_f32 v20, v20, v85, -v38
	v_mul_f32_e32 v38, v24, v82
	v_fma_f32 v63, v34, v93, -v19
	v_mul_f32_e32 v19, v37, v92
	v_fmac_f32_e32 v38, v25, v81
	v_fma_f32 v65, v36, v91, -v19
	v_mul_f32_e32 v36, v36, v92
	v_fmac_f32_e32 v39, v21, v85
	v_fmac_f32_e32 v36, v37, v91
	v_sub_f32_e32 v25, v15, v38
	v_sub_f32_e32 v38, v16, v65
	;; [unrolled: 1-line block ×4, first 2 shown]
	v_fma_f32 v36, v16, 2.0, -v38
	v_mul_lo_u16_e32 v16, 34, v40
	v_and_b32_e32 v16, 0xfe, v16
	v_sub_f32_e32 v19, v9, v29
	v_add_u32_sdwa v16, v16, v41 dst_sel:DWORD dst_unused:UNUSED_PAD src0_sel:DWORD src1_sel:BYTE_0
	v_fma_f32 v9, v9, 2.0, -v19
	v_add_lshl_u32 v116, v58, v16, 3
	ds_write2_b64 v116, v[8:9], v[18:19] offset1:17
	v_mul_u32_u24_e32 v8, 34, v42
	v_add_u32_sdwa v8, v8, v43 dst_sel:DWORD dst_unused:UNUSED_PAD src0_sel:DWORD src1_sel:BYTE_0
	v_add_lshl_u32 v117, v58, v8, 3
	v_mul_u32_u24_e32 v8, 34, v44
	v_add_u32_sdwa v8, v8, v45 dst_sel:DWORD dst_unused:UNUSED_PAD src0_sel:DWORD src1_sel:BYTE_0
	v_mul_f32_e32 v62, v26, v90
	v_add_lshl_u32 v118, v58, v8, 3
	v_mad_legacy_u16 v8, v46, 34, v47
	v_fmac_f32_e32 v62, v27, v89
	v_mul_f32_e32 v64, v34, v94
	v_add_lshl_u32 v119, v58, v8, 3
	v_mad_legacy_u16 v8, v48, 34, v49
	v_fmac_f32_e32 v64, v35, v93
	v_sub_f32_e32 v26, v30, v60
	v_sub_f32_e32 v27, v31, v62
	v_add_lshl_u32 v120, v58, v8, 3
	v_mad_legacy_u16 v8, v50, 34, v51
	v_sub_f32_e32 v20, v10, v20
	v_sub_f32_e32 v24, v14, v28
	v_fma_f32 v34, v30, 2.0, -v26
	v_fma_f32 v35, v31, 2.0, -v27
	v_sub_f32_e32 v30, v32, v63
	v_sub_f32_e32 v31, v33, v64
	v_add_lshl_u32 v121, v58, v8, 3
	v_mad_legacy_u16 v8, v52, 34, v53
	v_fma_f32 v10, v10, 2.0, -v20
	v_fma_f32 v11, v11, 2.0, -v21
	;; [unrolled: 1-line block ×7, first 2 shown]
	v_add_lshl_u32 v122, v58, v8, 3
	v_add_u32_e32 v8, 0x400, v112
	ds_write2_b64 v117, v[10:11], v[20:21] offset1:17
	ds_write2_b64 v118, v[12:13], v[22:23] offset1:17
	;; [unrolled: 1-line block ×6, first 2 shown]
	s_waitcnt lgkmcnt(0)
	s_barrier
	ds_read2_b64 v[32:35], v112 offset1:85
	ds_read2_b64 v[40:43], v8 offset0:110 offset1:195
	ds_read2_b64 v[44:47], v54 offset0:92 offset1:177
	v_add_u32_e32 v8, 0x1400, v112
	ds_read2_b64 v[48:51], v8 offset0:74 offset1:159
	ds_read2_b64 v[52:55], v55 offset0:56 offset1:141
	s_and_saveexec_b64 s[14:15], s[2:3]
	s_cbranch_execz .LBB0_9
; %bb.8:
	v_add_u32_e32 v9, 0x500, v112
	ds_read2_b64 v[28:31], v9 offset0:10 offset1:248
	ds_read2_b64 v[36:39], v8 offset0:6 offset1:244
	ds_read_b64 v[56:57], v112 offset:8976
.LBB0_9:
	s_or_b64 exec, exec, s[14:15]
	v_lshrrev_b16_e32 v70, 13, v7
	v_mul_lo_u16_e32 v7, 34, v70
	v_lshrrev_b16_e32 v72, 13, v6
	v_lshrrev_b16_e32 v114, 13, v4
	v_sub_u16_e32 v71, v110, v7
	v_mov_b32_e32 v7, 5
	v_mul_lo_u16_e32 v6, 34, v72
	v_mul_lo_u16_e32 v4, 34, v114
	v_lshlrev_b32_sdwa v8, v7, v71 dst_sel:DWORD dst_unused:UNUSED_PAD src0_sel:DWORD src1_sel:BYTE_0
	v_sub_u16_e32 v73, v5, v6
	v_sub_u16_e32 v115, v59, v4
	global_load_dwordx4 v[20:23], v8, s[12:13] offset:136
	global_load_dwordx4 v[12:15], v8, s[12:13] offset:152
	v_lshlrev_b32_sdwa v5, v7, v73 dst_sel:DWORD dst_unused:UNUSED_PAD src0_sel:DWORD src1_sel:BYTE_0
	v_lshlrev_b32_sdwa v60, v7, v115 dst_sel:DWORD dst_unused:UNUSED_PAD src0_sel:DWORD src1_sel:BYTE_0
	global_load_dwordx4 v[24:27], v5, s[12:13] offset:136
	global_load_dwordx4 v[16:19], v5, s[12:13] offset:152
	;; [unrolled: 1-line block ×3, first 2 shown]
	s_nop 0
	global_load_dwordx4 v[4:7], v60, s[12:13] offset:152
	v_mul_u32_u24_e32 v70, 0xaa, v70
	v_add_u32_sdwa v70, v70, v71 dst_sel:DWORD dst_unused:UNUSED_PAD src0_sel:DWORD src1_sel:BYTE_0
	v_add_lshl_u32 v123, v58, v70, 3
	s_waitcnt vmcnt(0) lgkmcnt(0)
	s_barrier
	v_mul_f32_e32 v64, v41, v21
	v_mul_f32_e32 v65, v40, v21
	;; [unrolled: 1-line block ×10, first 2 shown]
	v_fma_f32 v40, v40, v20, -v64
	v_fmac_f32_e32 v65, v41, v20
	v_fma_f32 v41, v44, v22, -v66
	v_fma_f32 v64, v48, v12, -v68
	v_fmac_f32_e32 v69, v49, v12
	v_fma_f32 v49, v52, v14, -v74
	v_mul_f32_e32 v67, v44, v23
	v_mul_f32_e32 v76, v43, v25
	;; [unrolled: 1-line block ×7, first 2 shown]
	v_fmac_f32_e32 v77, v43, v24
	v_fma_f32 v43, v46, v26, -v78
	v_fma_f32 v74, v50, v16, -v95
	v_fmac_f32_e32 v62, v39, v4
	v_add_f32_e32 v39, v41, v64
	v_sub_f32_e32 v46, v40, v41
	v_sub_f32_e32 v48, v49, v64
	v_add_f32_e32 v50, v40, v49
	v_mul_f32_e32 v75, v52, v15
	v_mul_f32_e32 v99, v31, v9
	;; [unrolled: 1-line block ×3, first 2 shown]
	v_fmac_f32_e32 v67, v45, v22
	v_fmac_f32_e32 v60, v31, v8
	v_fma_f32 v31, v36, v10, -v100
	v_fma_f32 v36, v38, v4, -v101
	v_add_f32_e32 v38, v32, v40
	v_fma_f32 v44, -0.5, v39, v32
	v_add_f32_e32 v39, v46, v48
	v_fma_f32 v46, -0.5, v50, v32
	v_fmac_f32_e32 v75, v53, v14
	v_fmac_f32_e32 v79, v47, v26
	v_sub_f32_e32 v47, v67, v69
	v_add_f32_e32 v38, v38, v41
	v_mov_b32_e32 v50, v46
	v_fmac_f32_e32 v96, v51, v16
	v_sub_f32_e32 v45, v65, v75
	v_sub_f32_e32 v51, v41, v40
	;; [unrolled: 1-line block ×3, first 2 shown]
	v_add_f32_e32 v32, v38, v64
	v_fmac_f32_e32 v50, 0xbf737871, v47
	v_fmac_f32_e32 v46, 0x3f737871, v47
	v_add_f32_e32 v52, v32, v49
	v_fmac_f32_e32 v50, 0x3f167918, v45
	v_add_f32_e32 v32, v51, v53
	v_fmac_f32_e32 v46, 0xbf167918, v45
	v_fmac_f32_e32 v50, 0x3e9e377a, v32
	;; [unrolled: 1-line block ×3, first 2 shown]
	v_add_f32_e32 v32, v33, v65
	v_add_f32_e32 v32, v32, v67
	;; [unrolled: 1-line block ×3, first 2 shown]
	v_mov_b32_e32 v48, v44
	v_add_f32_e32 v53, v32, v75
	v_add_f32_e32 v32, v67, v69
	v_fmac_f32_e32 v44, 0xbf737871, v45
	v_fmac_f32_e32 v48, 0x3f737871, v45
	v_fma_f32 v45, -0.5, v32, v33
	v_fmac_f32_e32 v44, 0xbf167918, v47
	v_fmac_f32_e32 v48, 0x3f167918, v47
	v_sub_f32_e32 v32, v40, v49
	v_mov_b32_e32 v49, v45
	v_fmac_f32_e32 v44, 0x3e9e377a, v39
	v_fmac_f32_e32 v48, 0x3e9e377a, v39
	v_fmac_f32_e32 v49, 0xbf737871, v32
	v_sub_f32_e32 v38, v41, v64
	v_sub_f32_e32 v39, v65, v67
	;; [unrolled: 1-line block ×3, first 2 shown]
	v_fmac_f32_e32 v45, 0x3f737871, v32
	v_fmac_f32_e32 v49, 0xbf167918, v38
	v_add_f32_e32 v39, v39, v40
	v_fmac_f32_e32 v45, 0x3f167918, v38
	v_fmac_f32_e32 v49, 0x3e9e377a, v39
	;; [unrolled: 1-line block ×3, first 2 shown]
	v_add_f32_e32 v39, v65, v75
	v_fma_f32 v47, -0.5, v39, v33
	v_mov_b32_e32 v51, v47
	v_fma_f32 v42, v42, v24, -v76
	v_fmac_f32_e32 v51, 0x3f737871, v38
	v_fmac_f32_e32 v47, 0xbf737871, v38
	v_fmac_f32_e32 v51, 0xbf167918, v32
	v_fmac_f32_e32 v47, 0x3f167918, v32
	v_add_f32_e32 v32, v34, v42
	v_mul_f32_e32 v97, v55, v19
	v_add_f32_e32 v32, v32, v43
	v_mul_f32_e32 v98, v54, v19
	v_mul_f32_e32 v102, v57, v7
	v_fma_f32 v54, v54, v18, -v97
	v_add_f32_e32 v32, v32, v74
	v_mul_f32_e32 v63, v56, v7
	v_fmac_f32_e32 v61, v37, v10
	v_fma_f32 v37, v56, v6, -v102
	v_add_f32_e32 v56, v32, v54
	v_add_f32_e32 v32, v43, v74
	v_fmac_f32_e32 v98, v55, v18
	v_sub_f32_e32 v33, v67, v65
	v_sub_f32_e32 v39, v69, v75
	v_fma_f32 v64, -0.5, v32, v34
	v_add_f32_e32 v33, v33, v39
	v_sub_f32_e32 v32, v77, v98
	v_mov_b32_e32 v66, v64
	v_fmac_f32_e32 v51, 0x3e9e377a, v33
	v_fmac_f32_e32 v47, 0x3e9e377a, v33
	;; [unrolled: 1-line block ×3, first 2 shown]
	v_sub_f32_e32 v33, v79, v96
	v_sub_f32_e32 v38, v42, v43
	;; [unrolled: 1-line block ×3, first 2 shown]
	v_fmac_f32_e32 v64, 0xbf737871, v32
	v_fmac_f32_e32 v66, 0x3f167918, v33
	v_add_f32_e32 v38, v38, v39
	v_fmac_f32_e32 v64, 0xbf167918, v33
	v_fmac_f32_e32 v66, 0x3e9e377a, v38
	;; [unrolled: 1-line block ×3, first 2 shown]
	v_add_f32_e32 v38, v42, v54
	v_fma_f32 v34, -0.5, v38, v34
	v_mov_b32_e32 v68, v34
	v_fmac_f32_e32 v68, 0xbf737871, v33
	v_fmac_f32_e32 v34, 0x3f737871, v33
	;; [unrolled: 1-line block ×4, first 2 shown]
	v_add_f32_e32 v32, v35, v77
	v_add_f32_e32 v32, v32, v79
	;; [unrolled: 1-line block ×3, first 2 shown]
	v_fmac_f32_e32 v63, v57, v6
	v_add_f32_e32 v57, v32, v98
	v_add_f32_e32 v32, v79, v96
	v_sub_f32_e32 v38, v43, v42
	v_sub_f32_e32 v39, v74, v54
	v_fma_f32 v65, -0.5, v32, v35
	v_add_f32_e32 v38, v38, v39
	v_sub_f32_e32 v32, v42, v54
	v_mov_b32_e32 v67, v65
	v_fmac_f32_e32 v68, 0x3e9e377a, v38
	v_fmac_f32_e32 v34, 0x3e9e377a, v38
	;; [unrolled: 1-line block ×3, first 2 shown]
	v_sub_f32_e32 v33, v43, v74
	v_sub_f32_e32 v38, v77, v79
	;; [unrolled: 1-line block ×3, first 2 shown]
	v_fmac_f32_e32 v65, 0x3f737871, v32
	v_fmac_f32_e32 v67, 0xbf167918, v33
	v_add_f32_e32 v38, v38, v39
	v_fmac_f32_e32 v65, 0x3f167918, v33
	v_fmac_f32_e32 v67, 0x3e9e377a, v38
	;; [unrolled: 1-line block ×3, first 2 shown]
	v_add_f32_e32 v38, v77, v98
	v_fmac_f32_e32 v35, -0.5, v38
	v_fma_f32 v30, v30, v8, -v99
	v_mov_b32_e32 v69, v35
	v_sub_f32_e32 v38, v79, v77
	v_sub_f32_e32 v39, v96, v98
	v_fmac_f32_e32 v69, 0x3f737871, v33
	v_add_f32_e32 v38, v38, v39
	v_fmac_f32_e32 v35, 0xbf737871, v33
	v_sub_f32_e32 v39, v30, v31
	v_sub_f32_e32 v40, v37, v36
	v_fmac_f32_e32 v69, 0xbf167918, v32
	v_fmac_f32_e32 v35, 0x3f167918, v32
	v_add_f32_e32 v32, v31, v36
	v_add_f32_e32 v42, v39, v40
	;; [unrolled: 1-line block ×3, first 2 shown]
	v_fmac_f32_e32 v69, 0x3e9e377a, v38
	v_fmac_f32_e32 v35, 0x3e9e377a, v38
	v_fma_f32 v38, -0.5, v32, v28
	v_fma_f32 v41, -0.5, v39, v29
	v_sub_f32_e32 v43, v60, v61
	v_sub_f32_e32 v55, v63, v62
	;; [unrolled: 1-line block ×3, first 2 shown]
	v_mov_b32_e32 v54, v38
	v_sub_f32_e32 v39, v30, v37
	v_add_f32_e32 v43, v43, v55
	v_mov_b32_e32 v55, v41
	v_sub_f32_e32 v33, v61, v62
	v_fmac_f32_e32 v54, 0xbf737871, v32
	v_sub_f32_e32 v40, v31, v36
	v_fmac_f32_e32 v55, 0x3f737871, v39
	ds_write2_b64 v123, v[52:53], v[48:49] offset1:34
	ds_write2_b64 v123, v[50:51], v[46:47] offset0:68 offset1:102
	ds_write_b64 v123, v[44:45] offset:1088
	v_mul_u32_u24_e32 v44, 0xaa, v72
	v_fmac_f32_e32 v54, 0xbf167918, v33
	v_fmac_f32_e32 v55, 0x3f167918, v40
	v_add_u32_sdwa v44, v44, v73 dst_sel:DWORD dst_unused:UNUSED_PAD src0_sel:DWORD src1_sel:BYTE_0
	v_fmac_f32_e32 v54, 0x3e9e377a, v42
	v_fmac_f32_e32 v55, 0x3e9e377a, v43
	v_add_lshl_u32 v124, v58, v44, 3
	ds_write2_b64 v124, v[56:57], v[66:67] offset1:34
	ds_write2_b64 v124, v[68:69], v[34:35] offset0:68 offset1:102
	ds_write_b64 v124, v[64:65] offset:1088
	s_and_saveexec_b64 s[14:15], s[2:3]
	s_cbranch_execz .LBB0_11
; %bb.10:
	v_sub_f32_e32 v34, v61, v60
	v_sub_f32_e32 v35, v62, v63
	v_add_f32_e32 v50, v34, v35
	v_add_f32_e32 v34, v60, v63
	v_mul_f32_e32 v47, 0x3e9e377a, v42
	v_fma_f32 v35, -0.5, v34, v29
	v_sub_f32_e32 v34, v31, v30
	v_sub_f32_e32 v42, v36, v37
	v_add_f32_e32 v51, v34, v42
	v_add_f32_e32 v34, v30, v37
	s_movk_i32 s16, 0xf1
	v_fma_f32 v34, -0.5, v34, v28
	v_add_f32_e32 v28, v28, v30
	v_mul_lo_u16_sdwa v30, v59, s16 dst_sel:DWORD dst_unused:UNUSED_PAD src0_sel:BYTE_0 src1_sel:DWORD
	v_mul_f32_e32 v44, 0x3f737871, v32
	v_mul_f32_e32 v45, 0x3f737871, v39
	v_add_f32_e32 v29, v29, v60
	v_lshrrev_b16_e32 v30, 13, v30
	v_mul_f32_e32 v46, 0x3f167918, v33
	v_mul_f32_e32 v48, 0x3f167918, v40
	;; [unrolled: 1-line block ×3, first 2 shown]
	v_mov_b32_e32 v43, v35
	v_mov_b32_e32 v42, v34
	v_sub_f32_e32 v41, v41, v45
	v_add_f32_e32 v38, v38, v44
	v_add_f32_e32 v29, v29, v61
	;; [unrolled: 1-line block ×3, first 2 shown]
	v_mul_u32_u24_e32 v30, 0xaa, v30
	v_fmac_f32_e32 v43, 0x3f737871, v40
	v_fmac_f32_e32 v42, 0xbf737871, v33
	v_sub_f32_e32 v41, v41, v48
	v_add_f32_e32 v38, v46, v38
	v_add_f32_e32 v29, v29, v62
	;; [unrolled: 1-line block ×3, first 2 shown]
	v_fmac_f32_e32 v35, 0xbf737871, v40
	v_fmac_f32_e32 v34, 0x3f737871, v33
	v_add_u32_sdwa v30, v30, v115 dst_sel:DWORD dst_unused:UNUSED_PAD src0_sel:DWORD src1_sel:BYTE_0
	v_fmac_f32_e32 v43, 0xbf167918, v39
	v_fmac_f32_e32 v42, 0x3f167918, v32
	v_add_f32_e32 v45, v49, v41
	v_add_f32_e32 v44, v47, v38
	;; [unrolled: 1-line block ×4, first 2 shown]
	v_fmac_f32_e32 v35, 0x3f167918, v39
	v_fmac_f32_e32 v34, 0xbf167918, v32
	v_add_lshl_u32 v30, v58, v30, 3
	v_fmac_f32_e32 v43, 0x3e9e377a, v50
	v_fmac_f32_e32 v42, 0x3e9e377a, v51
	;; [unrolled: 1-line block ×4, first 2 shown]
	ds_write2_b64 v30, v[28:29], v[44:45] offset1:34
	ds_write2_b64 v30, v[42:43], v[34:35] offset0:68 offset1:102
	ds_write_b64 v30, v[54:55] offset:1088
.LBB0_11:
	s_or_b64 exec, exec, s[14:15]
	v_mad_u64_u32 v[36:37], s[12:13], v110, 48, s[12:13]
	s_movk_i32 s12, 0x1000
	s_waitcnt lgkmcnt(0)
	v_add_co_u32_e32 v38, vcc, s12, v36
	s_barrier
	global_load_dwordx4 v[40:43], v[36:37], off offset:1224
	global_load_dwordx4 v[32:35], v[36:37], off offset:1240
	;; [unrolled: 1-line block ×3, first 2 shown]
	s_movk_i32 s13, 0x14b8
	v_addc_co_u32_e32 v39, vcc, 0, v37, vcc
	global_load_dwordx4 v[48:51], v[38:39], off offset:1208
	v_add_co_u32_e32 v52, vcc, s13, v36
	v_addc_co_u32_e32 v53, vcc, 0, v37, vcc
	global_load_dwordx4 v[44:47], v[52:53], off offset:16
	global_load_dwordx4 v[36:39], v[52:53], off offset:32
	v_add_u32_e32 v52, 0x800, v112
	ds_read2_b64 v[66:69], v112 offset1:85
	ds_read2_b64 v[56:59], v112 offset0:170 offset1:255
	v_add_u32_e32 v53, 0xc00, v112
	v_add_u32_e32 v64, 0x1000, v112
	;; [unrolled: 1-line block ×4, first 2 shown]
	ds_read2_b64 v[60:63], v52 offset0:84 offset1:169
	ds_read2_b64 v[70:73], v53 offset0:126 offset1:211
	;; [unrolled: 1-line block ×5, first 2 shown]
	s_mov_b32 s12, 0x3f5ff5aa
	s_mov_b32 s13, 0x3f3bfb3b
	;; [unrolled: 1-line block ×4, first 2 shown]
	v_lshl_add_u32 v113, v110, 3, v111
	s_waitcnt vmcnt(5) lgkmcnt(5)
	v_mul_f32_e32 v52, v57, v41
	v_mul_f32_e32 v53, v56, v41
	s_waitcnt lgkmcnt(4)
	v_mul_f32_e32 v64, v61, v43
	v_mul_f32_e32 v65, v60, v43
	s_waitcnt vmcnt(4) lgkmcnt(3)
	v_mul_f32_e32 v78, v71, v33
	s_waitcnt lgkmcnt(2)
	v_mul_f32_e32 v103, v75, v35
	s_waitcnt vmcnt(3) lgkmcnt(1)
	v_mul_f32_e32 v105, v96, v29
	s_waitcnt lgkmcnt(0)
	v_mul_f32_e32 v107, v100, v31
	v_mul_f32_e32 v79, v70, v33
	;; [unrolled: 1-line block ×5, first 2 shown]
	v_fma_f32 v52, v56, v40, -v52
	v_fmac_f32_e32 v53, v57, v40
	v_fma_f32 v56, v60, v42, -v64
	v_fmac_f32_e32 v65, v61, v42
	v_fma_f32 v57, v70, v32, -v78
	v_fma_f32 v60, v74, v34, -v103
	;; [unrolled: 1-line block ×4, first 2 shown]
	s_waitcnt vmcnt(2)
	v_mul_f32_e32 v70, v59, v49
	v_mul_f32_e32 v74, v63, v51
	v_fmac_f32_e32 v79, v71, v32
	v_fmac_f32_e32 v104, v75, v34
	v_fmac_f32_e32 v106, v96, v28
	v_fmac_f32_e32 v108, v100, v30
	v_mul_f32_e32 v71, v58, v49
	v_mul_f32_e32 v75, v62, v51
	s_waitcnt vmcnt(1)
	v_mul_f32_e32 v78, v73, v45
	v_fma_f32 v70, v58, v48, -v70
	v_fma_f32 v74, v62, v50, -v74
	v_add_f32_e32 v58, v52, v64
	v_add_f32_e32 v62, v56, v61
	v_mul_f32_e32 v99, v72, v45
	v_mul_f32_e32 v95, v77, v47
	s_waitcnt vmcnt(0)
	v_mul_f32_e32 v96, v98, v37
	v_fmac_f32_e32 v71, v59, v48
	v_fmac_f32_e32 v75, v63, v50
	v_fma_f32 v72, v72, v44, -v78
	v_add_f32_e32 v59, v53, v108
	v_sub_f32_e32 v52, v52, v64
	v_add_f32_e32 v63, v65, v106
	v_sub_f32_e32 v56, v56, v61
	v_add_f32_e32 v64, v57, v60
	v_sub_f32_e32 v57, v60, v57
	v_add_f32_e32 v78, v62, v58
	v_mul_f32_e32 v100, v76, v47
	v_mul_f32_e32 v103, v97, v37
	;; [unrolled: 1-line block ×3, first 2 shown]
	v_fmac_f32_e32 v99, v73, v44
	v_fma_f32 v73, v76, v46, -v95
	v_fma_f32 v76, v97, v36, -v96
	v_sub_f32_e32 v61, v65, v106
	v_add_f32_e32 v65, v79, v104
	v_sub_f32_e32 v60, v104, v79
	v_add_f32_e32 v79, v63, v59
	v_sub_f32_e32 v97, v62, v58
	v_sub_f32_e32 v58, v58, v64
	;; [unrolled: 1-line block ×3, first 2 shown]
	v_add_f32_e32 v95, v57, v56
	v_add_f32_e32 v64, v64, v78
	v_mul_f32_e32 v107, v101, v39
	v_fmac_f32_e32 v100, v77, v46
	v_fmac_f32_e32 v103, v98, v36
	v_fma_f32 v77, v101, v38, -v105
	v_sub_f32_e32 v53, v53, v108
	v_sub_f32_e32 v98, v63, v59
	;; [unrolled: 1-line block ×4, first 2 shown]
	v_add_f32_e32 v96, v60, v61
	v_sub_f32_e32 v101, v57, v56
	v_sub_f32_e32 v57, v52, v57
	;; [unrolled: 1-line block ×3, first 2 shown]
	v_add_f32_e32 v65, v65, v79
	v_add_f32_e32 v52, v95, v52
	;; [unrolled: 1-line block ×3, first 2 shown]
	v_fmac_f32_e32 v107, v102, v38
	v_sub_f32_e32 v102, v60, v61
	v_sub_f32_e32 v60, v53, v60
	;; [unrolled: 1-line block ×3, first 2 shown]
	v_add_f32_e32 v53, v96, v53
	v_add_f32_e32 v96, v67, v65
	v_mov_b32_e32 v104, v95
	v_mul_f32_e32 v58, 0x3f4a47b2, v58
	v_mul_f32_e32 v59, 0x3f4a47b2, v59
	;; [unrolled: 1-line block ×8, first 2 shown]
	v_fmac_f32_e32 v104, 0xbf955555, v64
	v_mov_b32_e32 v64, v96
	v_fmac_f32_e32 v64, 0xbf955555, v65
	v_fma_f32 v65, v97, s13, -v66
	v_fma_f32 v66, v98, s13, -v67
	;; [unrolled: 1-line block ×3, first 2 shown]
	v_fmac_f32_e32 v58, 0x3d64c772, v62
	v_fma_f32 v62, v98, s14, -v59
	v_fmac_f32_e32 v59, 0x3d64c772, v63
	v_fma_f32 v63, v56, s12, -v78
	;; [unrolled: 2-line block ×3, first 2 shown]
	v_fma_f32 v98, v57, s15, -v101
	v_fma_f32 v101, v60, s15, -v102
	v_fmac_f32_e32 v79, 0x3eae86e6, v60
	v_add_f32_e32 v105, v59, v64
	v_add_f32_e32 v65, v65, v104
	;; [unrolled: 1-line block ×3, first 2 shown]
	v_fmac_f32_e32 v78, 0x3ee1c552, v52
	v_fmac_f32_e32 v63, 0x3ee1c552, v52
	;; [unrolled: 1-line block ×5, first 2 shown]
	v_add_f32_e32 v52, v70, v77
	v_sub_f32_e32 v70, v70, v77
	v_add_f32_e32 v77, v74, v76
	v_add_f32_e32 v102, v58, v104
	;; [unrolled: 1-line block ×4, first 2 shown]
	v_fmac_f32_e32 v79, 0x3ee1c552, v53
	v_sub_f32_e32 v57, v105, v78
	v_add_f32_e32 v58, v101, v67
	v_sub_f32_e32 v60, v65, v97
	v_add_f32_e32 v62, v97, v65
	;; [unrolled: 2-line block ×3, first 2 shown]
	v_add_f32_e32 v53, v71, v107
	v_add_f32_e32 v78, v75, v103
	v_sub_f32_e32 v74, v74, v76
	v_add_f32_e32 v76, v72, v73
	v_add_f32_e32 v97, v77, v52
	;; [unrolled: 1-line block ×3, first 2 shown]
	v_sub_f32_e32 v59, v104, v98
	v_add_f32_e32 v61, v63, v66
	v_sub_f32_e32 v63, v66, v63
	v_add_f32_e32 v65, v98, v104
	;; [unrolled: 2-line block ×3, first 2 shown]
	v_sub_f32_e32 v72, v73, v72
	v_sub_f32_e32 v73, v100, v99
	v_add_f32_e32 v98, v78, v53
	v_sub_f32_e32 v99, v77, v52
	v_sub_f32_e32 v52, v52, v76
	;; [unrolled: 1-line block ×3, first 2 shown]
	v_add_f32_e32 v76, v76, v97
	v_sub_f32_e32 v75, v75, v103
	v_sub_f32_e32 v100, v78, v53
	;; [unrolled: 1-line block ×4, first 2 shown]
	v_add_f32_e32 v79, v79, v98
	v_add_f32_e32 v68, v68, v76
	v_sub_f32_e32 v71, v71, v107
	v_add_f32_e32 v101, v72, v74
	v_add_f32_e32 v102, v73, v75
	v_sub_f32_e32 v103, v72, v74
	v_sub_f32_e32 v104, v73, v75
	v_add_f32_e32 v69, v69, v79
	v_mov_b32_e32 v105, v68
	v_sub_f32_e32 v72, v70, v72
	v_sub_f32_e32 v73, v71, v73
	v_sub_f32_e32 v74, v74, v70
	v_sub_f32_e32 v75, v75, v71
	v_add_f32_e32 v70, v101, v70
	v_add_f32_e32 v71, v102, v71
	v_mul_f32_e32 v52, 0x3f4a47b2, v52
	v_mul_f32_e32 v53, 0x3f4a47b2, v53
	;; [unrolled: 1-line block ×6, first 2 shown]
	v_fmac_f32_e32 v105, 0xbf955555, v76
	v_mov_b32_e32 v76, v69
	v_mul_f32_e32 v103, 0x3f5ff5aa, v74
	v_mul_f32_e32 v104, 0x3f5ff5aa, v75
	v_fmac_f32_e32 v76, 0xbf955555, v79
	v_fma_f32 v79, v99, s13, -v97
	v_fma_f32 v97, v100, s13, -v98
	v_fma_f32 v98, v99, s14, -v52
	v_fmac_f32_e32 v52, 0x3d64c772, v77
	v_fma_f32 v77, v100, s14, -v53
	v_fmac_f32_e32 v53, 0x3d64c772, v78
	v_fma_f32 v78, v74, s12, -v101
	v_fma_f32 v99, v75, s12, -v102
	v_fmac_f32_e32 v101, 0x3eae86e6, v72
	v_fmac_f32_e32 v102, 0x3eae86e6, v73
	v_fma_f32 v100, v72, s15, -v103
	v_fma_f32 v103, v73, s15, -v104
	v_add_f32_e32 v79, v79, v105
	v_add_f32_e32 v97, v97, v76
	v_fmac_f32_e32 v78, 0x3ee1c552, v70
	v_fmac_f32_e32 v99, 0x3ee1c552, v71
	v_add_f32_e32 v52, v52, v105
	v_add_f32_e32 v53, v53, v76
	;; [unrolled: 1-line block ×4, first 2 shown]
	v_fmac_f32_e32 v101, 0x3ee1c552, v70
	v_fmac_f32_e32 v102, 0x3ee1c552, v71
	;; [unrolled: 1-line block ×4, first 2 shown]
	v_add_f32_e32 v75, v78, v97
	v_add_f32_e32 v76, v99, v79
	v_sub_f32_e32 v77, v97, v78
	v_add_u32_e32 v97, 0x1400, v113
	v_add_f32_e32 v70, v102, v52
	v_sub_f32_e32 v71, v53, v101
	v_add_f32_e32 v72, v103, v98
	v_sub_f32_e32 v73, v104, v100
	v_sub_f32_e32 v74, v79, v99
	;; [unrolled: 1-line block ×3, first 2 shown]
	v_add_f32_e32 v79, v100, v104
	v_sub_f32_e32 v52, v52, v102
	v_add_f32_e32 v53, v101, v53
	ds_write_b64 v113, v[95:96]
	ds_write2_b64 v113, v[68:69], v[56:57] offset0:85 offset1:170
	v_add_u32_e32 v98, 0x400, v113
	v_add_u32_e32 v100, 0x800, v113
	;; [unrolled: 1-line block ×3, first 2 shown]
	ds_write2_b64 v97, v[76:77], v[64:65] offset0:125 offset1:210
	v_add_u32_e32 v97, 0x1800, v113
	ds_write2_b64 v98, v[70:71], v[58:59] offset0:127 offset1:212
	ds_write2_b64 v100, v[72:73], v[60:61] offset0:169 offset1:254
	;; [unrolled: 1-line block ×4, first 2 shown]
	ds_write_b64 v113, v[52:53] offset:8840
	s_waitcnt lgkmcnt(0)
	s_barrier
	s_and_saveexec_b64 s[12:13], s[0:1]
	s_cbranch_execz .LBB0_13
; %bb.12:
	v_mov_b32_e32 v101, s9
	v_add_co_u32_e32 v107, vcc, s8, v109
	v_addc_co_u32_e32 v108, vcc, 0, v101, vcc
	v_add_co_u32_e32 v101, vcc, 0x2530, v107
	v_addc_co_u32_e32 v102, vcc, 0, v108, vcc
	;; [unrolled: 2-line block ×3, first 2 shown]
	global_load_dwordx2 v[105:106], v[103:104], off offset:1328
	global_load_dwordx2 v[137:138], v[101:102], off offset:560
                                        ; kill: killed $vgpr103 killed $vgpr104
	global_load_dwordx2 v[139:140], v[101:102], off offset:1120
	global_load_dwordx2 v[141:142], v[101:102], off offset:1680
	;; [unrolled: 1-line block ×6, first 2 shown]
	s_movk_i32 s14, 0x3000
	v_add_co_u32_e32 v101, vcc, s14, v107
	v_addc_co_u32_e32 v102, vcc, 0, v108, vcc
	global_load_dwordx2 v[151:152], v[101:102], off offset:1712
	global_load_dwordx2 v[153:154], v[101:102], off offset:2272
	;; [unrolled: 1-line block ×5, first 2 shown]
	s_movk_i32 s14, 0x4000
	v_add_co_u32_e32 v101, vcc, s14, v107
	v_addc_co_u32_e32 v102, vcc, 0, v108, vcc
	global_load_dwordx2 v[161:162], v[101:102], off offset:416
	global_load_dwordx2 v[163:164], v[101:102], off offset:976
	global_load_dwordx2 v[165:166], v[101:102], off offset:1536
	global_load_dwordx2 v[167:168], v[101:102], off offset:2096
	ds_read_b64 v[103:104], v113
	v_add_u32_e32 v171, 0xc00, v113
	s_waitcnt vmcnt(16) lgkmcnt(0)
	v_mul_f32_e32 v101, v104, v106
	v_mul_f32_e32 v102, v103, v106
	v_fma_f32 v101, v103, v105, -v101
	v_fmac_f32_e32 v102, v104, v105
	ds_write_b64 v113, v[101:102]
	ds_read2_b64 v[101:104], v113 offset0:70 offset1:140
	ds_read2_b64 v[105:108], v98 offset0:82 offset1:152
	;; [unrolled: 1-line block ×5, first 2 shown]
	s_waitcnt vmcnt(15) lgkmcnt(4)
	v_mul_f32_e32 v169, v102, v138
	v_mul_f32_e32 v170, v101, v138
	s_waitcnt vmcnt(14)
	v_mul_f32_e32 v172, v104, v140
	v_mul_f32_e32 v138, v103, v140
	s_waitcnt vmcnt(13) lgkmcnt(3)
	v_mul_f32_e32 v173, v106, v142
	v_mul_f32_e32 v140, v105, v142
	s_waitcnt vmcnt(12)
	v_mul_f32_e32 v174, v108, v144
	v_mul_f32_e32 v142, v107, v144
	;; [unrolled: 6-line block ×4, first 2 shown]
	v_fma_f32 v169, v101, v137, -v169
	v_fmac_f32_e32 v170, v102, v137
	v_fma_f32 v137, v103, v139, -v172
	v_fmac_f32_e32 v138, v104, v139
	;; [unrolled: 2-line block ×8, first 2 shown]
	ds_write2_b64 v113, v[169:170], v[137:138] offset0:70 offset1:140
	ds_write2_b64 v98, v[139:140], v[141:142] offset0:82 offset1:152
	;; [unrolled: 1-line block ×4, first 2 shown]
	ds_read2_b64 v[100:103], v97 offset0:2 offset1:72
	s_waitcnt vmcnt(7) lgkmcnt(5)
	v_mul_f32_e32 v179, v134, v154
	v_mul_f32_e32 v152, v133, v154
	s_waitcnt vmcnt(6)
	v_mul_f32_e32 v154, v136, v156
	v_mul_f32_e32 v105, v135, v156
	v_fma_f32 v151, v133, v153, -v179
	v_fmac_f32_e32 v152, v134, v153
	v_fma_f32 v104, v135, v155, -v154
	v_fmac_f32_e32 v105, v136, v155
	ds_write2_b64 v99, v[151:152], v[104:105] offset0:118 offset1:188
	s_waitcnt vmcnt(5) lgkmcnt(1)
	v_mul_f32_e32 v98, v101, v158
	v_mul_f32_e32 v105, v100, v158
	v_fma_f32 v104, v100, v157, -v98
	v_fmac_f32_e32 v105, v101, v157
	ds_read2_b64 v[98:101], v97 offset0:142 offset1:212
	s_waitcnt vmcnt(4)
	v_mul_f32_e32 v106, v103, v160
	v_mul_f32_e32 v107, v102, v160
	v_fma_f32 v106, v102, v159, -v106
	v_fmac_f32_e32 v107, v103, v159
	s_waitcnt vmcnt(3) lgkmcnt(0)
	v_mul_f32_e32 v102, v99, v162
	v_add_u32_e32 v108, 0x2000, v113
	ds_write2_b64 v97, v[104:105], v[106:107] offset0:2 offset1:72
	v_fma_f32 v106, v98, v161, -v102
	ds_read2_b64 v[102:105], v108 offset0:26 offset1:96
	v_mul_f32_e32 v107, v98, v162
	v_fmac_f32_e32 v107, v99, v161
	s_waitcnt vmcnt(2)
	v_mul_f32_e32 v98, v101, v164
	v_mul_f32_e32 v99, v100, v164
	v_fma_f32 v98, v100, v163, -v98
	v_fmac_f32_e32 v99, v101, v163
	ds_write2_b64 v97, v[106:107], v[98:99] offset0:142 offset1:212
	s_waitcnt vmcnt(1) lgkmcnt(1)
	v_mul_f32_e32 v97, v103, v166
	v_mul_f32_e32 v98, v102, v166
	s_waitcnt vmcnt(0)
	v_mul_f32_e32 v99, v105, v168
	v_mul_f32_e32 v100, v104, v168
	v_fma_f32 v97, v102, v165, -v97
	v_fmac_f32_e32 v98, v103, v165
	v_fma_f32 v99, v104, v167, -v99
	v_fmac_f32_e32 v100, v105, v167
	ds_write2_b64 v108, v[97:98], v[99:100] offset0:26 offset1:96
.LBB0_13:
	s_or_b64 exec, exec, s[12:13]
	s_waitcnt lgkmcnt(0)
	s_barrier
	s_and_saveexec_b64 s[12:13], s[0:1]
	s_cbranch_execz .LBB0_15
; %bb.14:
	v_add_u32_e32 v0, 0x400, v113
	ds_read_b64 v[95:96], v113
	ds_read2_b64 v[56:59], v113 offset0:70 offset1:140
	ds_read2_b64 v[60:63], v0 offset0:82 offset1:152
	v_add_u32_e32 v0, 0x800, v113
	ds_read2_b64 v[64:67], v0 offset0:94 offset1:164
	v_add_u32_e32 v0, 0xc00, v113
	ds_read2_b64 v[68:71], v0 offset0:106 offset1:176
	v_add_u32_e32 v0, 0x1000, v113
	ds_read2_b64 v[72:75], v0 offset0:118 offset1:188
	v_add_u32_e32 v52, 0x1800, v113
	v_add_u32_e32 v0, 0x2000, v113
	ds_read2_b64 v[0:3], v0 offset0:26 offset1:96
	ds_read2_b64 v[76:79], v52 offset0:2 offset1:72
	;; [unrolled: 1-line block ×3, first 2 shown]
.LBB0_15:
	s_or_b64 exec, exec, s[12:13]
	s_waitcnt lgkmcnt(2)
	v_sub_f32_e32 v141, v57, v3
	v_add_f32_e32 v125, v2, v56
	v_add_f32_e32 v145, v3, v57
	s_mov_b32 s14, 0x3ee437d1
	v_mul_f32_e32 v157, 0xbf65296c, v141
	v_sub_f32_e32 v142, v59, v1
	v_mul_f32_e32 v159, 0x3ee437d1, v145
	v_fma_f32 v97, v125, s14, -v157
	v_add_f32_e32 v126, v0, v58
	v_add_f32_e32 v147, v1, v59
	s_mov_b32 s15, 0xbf1a4643
	v_mul_f32_e32 v158, 0xbf4c4adb, v142
	v_sub_f32_e32 v128, v56, v2
	v_add_f32_e32 v97, v95, v97
	v_mov_b32_e32 v98, v159
	v_mul_f32_e32 v161, 0xbf1a4643, v147
	v_fma_f32 v99, v126, s15, -v158
	v_fmac_f32_e32 v98, 0xbf65296c, v128
	v_sub_f32_e32 v130, v58, v0
	v_add_f32_e32 v97, v99, v97
	v_mov_b32_e32 v99, v161
	s_waitcnt lgkmcnt(0)
	v_sub_f32_e32 v143, v61, v55
	v_add_f32_e32 v98, v96, v98
	v_fmac_f32_e32 v99, 0xbf4c4adb, v130
	v_add_f32_e32 v127, v54, v60
	v_add_f32_e32 v149, v55, v61
	s_mov_b32 s16, 0xbf7ba420
	v_mul_f32_e32 v160, 0x3e3c28d5, v143
	v_add_f32_e32 v98, v99, v98
	v_mul_f32_e32 v163, 0xbf7ba420, v149
	v_fma_f32 v99, v127, s16, -v160
	v_sub_f32_e32 v132, v60, v54
	v_add_f32_e32 v97, v99, v97
	v_mov_b32_e32 v99, v163
	v_sub_f32_e32 v144, v63, v53
	v_fmac_f32_e32 v99, 0x3e3c28d5, v132
	v_add_f32_e32 v129, v52, v62
	v_add_f32_e32 v151, v53, v63
	s_mov_b32 s17, 0xbe8c1d8e
	v_mul_f32_e32 v162, 0x3f763a35, v144
	v_add_f32_e32 v98, v99, v98
	v_mul_f32_e32 v165, 0xbe8c1d8e, v151
	v_fma_f32 v99, v129, s17, -v162
	v_sub_f32_e32 v134, v62, v52
	v_add_f32_e32 v97, v99, v97
	v_mov_b32_e32 v99, v165
	v_sub_f32_e32 v146, v65, v79
	;; [unrolled: 12-line block ×5, first 2 shown]
	v_fmac_f32_e32 v99, 0xbf7ee86f, v139
	v_add_f32_e32 v138, v72, v70
	v_add_f32_e32 v156, v73, v71
	s_mov_b32 s21, 0xbf59a7d5
	v_mul_f32_e32 v170, 0xbf06c442, v152
	v_add_f32_e32 v98, v99, v98
	v_mul_f32_e32 v172, 0xbf59a7d5, v156
	v_fma_f32 v99, v138, s21, -v170
	v_sub_f32_e32 v140, v70, v72
	v_add_f32_e32 v97, v99, v97
	v_mov_b32_e32 v99, v172
	v_fmac_f32_e32 v99, 0xbf06c442, v140
	v_add_f32_e32 v98, v99, v98
	s_barrier
	s_and_saveexec_b64 s[12:13], s[0:1]
	s_cbranch_execz .LBB0_17
; %bb.16:
	v_mul_f32_e32 v177, 0xbf763a35, v128
	v_mov_b32_e32 v99, v177
	v_mul_f32_e32 v178, 0x3f06c442, v130
	v_fmac_f32_e32 v99, 0xbe8c1d8e, v145
	v_mov_b32_e32 v100, v178
	v_add_f32_e32 v99, v96, v99
	v_fmac_f32_e32 v100, 0xbf59a7d5, v147
	v_mul_f32_e32 v179, 0x3f2c7751, v132
	v_add_f32_e32 v99, v100, v99
	v_mov_b32_e32 v100, v179
	v_fmac_f32_e32 v100, 0x3f3d2fb0, v149
	v_mul_f32_e32 v180, 0xbf65296c, v134
	v_add_f32_e32 v99, v100, v99
	v_mov_b32_e32 v100, v180
	;; [unrolled: 4-line block ×6, first 2 shown]
	v_fmac_f32_e32 v100, 0xbf1a4643, v156
	v_mul_f32_e32 v201, 0xbf763a35, v141
	v_add_f32_e32 v100, v100, v99
	v_fma_f32 v99, v125, s17, -v201
	v_mul_f32_e32 v202, 0x3f06c442, v142
	v_add_f32_e32 v99, v95, v99
	v_fma_f32 v101, v126, s21, -v202
	v_mul_f32_e32 v203, 0x3f2c7751, v143
	v_add_f32_e32 v99, v101, v99
	v_fma_f32 v101, v127, s18, -v203
	v_mul_f32_e32 v204, 0xbf65296c, v144
	v_add_f32_e32 v99, v101, v99
	v_fma_f32 v101, v129, s14, -v204
	v_mul_f32_e32 v205, 0xbe3c28d5, v146
	v_add_f32_e32 v99, v101, v99
	v_fma_f32 v101, v131, s16, -v205
	v_mul_f32_e32 v206, 0x3f7ee86f, v148
	v_add_f32_e32 v99, v101, v99
	v_fma_f32 v101, v133, s20, -v206
	v_mul_f32_e32 v207, 0xbeb8f4ab, v150
	v_add_f32_e32 v99, v101, v99
	v_fma_f32 v101, v135, s19, -v207
	v_mul_f32_e32 v208, 0xbf4c4adb, v152
	v_add_f32_e32 v99, v101, v99
	v_fma_f32 v101, v138, s15, -v208
	v_mul_f32_e32 v175, 0xbf4c4adb, v128
	v_add_f32_e32 v99, v101, v99
	v_mov_b32_e32 v101, v175
	v_mul_f32_e32 v176, 0x3f763a35, v130
	v_mul_f32_e32 v181, 0x3ee437d1, v125
	v_fmac_f32_e32 v101, 0xbf1a4643, v145
	v_mov_b32_e32 v102, v176
	v_mul_f32_e32 v183, 0xbf1a4643, v126
	v_add_f32_e32 v101, v96, v101
	v_fmac_f32_e32 v102, 0xbe8c1d8e, v147
	v_mul_f32_e32 v209, 0xbeb8f4ab, v132
	v_add_f32_e32 v157, v181, v157
	v_mul_f32_e32 v182, 0xbf65296c, v128
	v_mul_f32_e32 v185, 0xbf7ba420, v127
	v_add_f32_e32 v101, v102, v101
	v_mov_b32_e32 v102, v209
	v_add_f32_e32 v157, v95, v157
	v_add_f32_e32 v158, v183, v158
	;; [unrolled: 1-line block ×3, first 2 shown]
	v_mul_f32_e32 v184, 0xbf4c4adb, v130
	v_mul_f32_e32 v187, 0xbe8c1d8e, v129
	v_fmac_f32_e32 v102, 0x3f6eb680, v149
	v_mul_f32_e32 v210, 0xbf06c442, v134
	v_sub_f32_e32 v159, v159, v182
	v_add_f32_e32 v157, v158, v157
	v_add_f32_e32 v158, v185, v160
	;; [unrolled: 1-line block ×3, first 2 shown]
	v_mul_f32_e32 v186, 0x3e3c28d5, v132
	v_mul_f32_e32 v189, 0x3f3d2fb0, v131
	v_add_f32_e32 v101, v102, v101
	v_mov_b32_e32 v102, v210
	v_add_f32_e32 v159, v96, v159
	v_sub_f32_e32 v161, v161, v184
	v_add_f32_e32 v157, v158, v157
	v_add_f32_e32 v158, v187, v162
	;; [unrolled: 1-line block ×3, first 2 shown]
	v_mul_f32_e32 v188, 0x3f763a35, v134
	v_mul_f32_e32 v191, 0x3f6eb680, v133
	v_fmac_f32_e32 v102, 0xbf59a7d5, v151
	v_mul_f32_e32 v211, 0x3f7ee86f, v136
	v_add_f32_e32 v159, v161, v159
	v_sub_f32_e32 v161, v163, v186
	v_add_f32_e32 v157, v158, v157
	v_add_f32_e32 v158, v189, v164
	v_add_f32_e32 v57, v63, v57
	v_mul_f32_e32 v190, 0x3f2c7751, v136
	v_mul_f32_e32 v193, 0x3dbcf732, v135
	v_add_f32_e32 v101, v102, v101
	v_mov_b32_e32 v102, v211
	v_add_f32_e32 v159, v161, v159
	v_sub_f32_e32 v161, v165, v188
	v_add_f32_e32 v157, v158, v157
	v_add_f32_e32 v158, v191, v166
	;; [unrolled: 1-line block ×3, first 2 shown]
	v_mul_f32_e32 v192, 0xbeb8f4ab, v137
	v_mul_f32_e32 v195, 0xbf59a7d5, v138
	v_fmac_f32_e32 v102, 0x3dbcf732, v153
	v_mul_f32_e32 v212, 0xbf2c7751, v137
	v_fma_f32 v177, v145, s17, -v177
	v_add_f32_e32 v159, v161, v159
	v_sub_f32_e32 v161, v167, v190
	v_add_f32_e32 v157, v158, v157
	v_add_f32_e32 v158, v193, v168
	;; [unrolled: 1-line block ×3, first 2 shown]
	v_mul_f32_e32 v194, 0xbf7ee86f, v139
	v_add_f32_e32 v101, v102, v101
	v_mov_b32_e32 v102, v212
	v_add_f32_e32 v177, v96, v177
	v_fma_f32 v178, v147, s21, -v178
	v_add_f32_e32 v159, v161, v159
	v_sub_f32_e32 v161, v169, v192
	v_add_f32_e32 v157, v158, v157
	v_add_f32_e32 v158, v195, v170
	;; [unrolled: 1-line block ×3, first 2 shown]
	v_mul_f32_e32 v196, 0xbf06c442, v140
	v_fmac_f32_e32 v102, 0x3f3d2fb0, v154
	v_mul_f32_e32 v213, 0xbe3c28d5, v139
	v_add_f32_e32 v177, v178, v177
	v_fma_f32 v178, v149, s18, -v179
	v_add_f32_e32 v159, v161, v159
	v_sub_f32_e32 v161, v171, v194
	v_add_f32_e32 v158, v158, v157
	v_mul_f32_e32 v157, 0x3f3d2fb0, v145
	v_add_f32_e32 v57, v71, v57
	v_add_f32_e32 v101, v102, v101
	v_mov_b32_e32 v102, v213
	v_add_f32_e32 v177, v178, v177
	v_fma_f32 v178, v151, s14, -v180
	v_add_f32_e32 v159, v161, v159
	v_sub_f32_e32 v161, v172, v196
	v_mov_b32_e32 v160, v157
	v_mul_f32_e32 v162, 0x3dbcf732, v147
	v_add_f32_e32 v57, v73, v57
	v_fmac_f32_e32 v102, 0xbf7ba420, v155
	v_mul_f32_e32 v214, 0x3f65296c, v140
	v_add_f32_e32 v177, v178, v177
	v_fma_f32 v178, v153, s16, -v197
	v_mul_f32_e32 v197, 0x3dbcf732, v145
	v_add_f32_e32 v159, v161, v159
	v_fmac_f32_e32 v160, 0x3f2c7751, v128
	v_mov_b32_e32 v161, v162
	v_add_f32_e32 v57, v75, v57
	v_add_f32_e32 v101, v102, v101
	v_mov_b32_e32 v102, v214
	v_add_f32_e32 v177, v178, v177
	v_fma_f32 v178, v154, s20, -v198
	v_mov_b32_e32 v179, v197
	v_mul_f32_e32 v198, 0xbf7ba420, v147
	v_add_f32_e32 v160, v96, v160
	v_fmac_f32_e32 v161, 0x3f7ee86f, v130
	v_mul_f32_e32 v163, 0xbf1a4643, v149
	v_add_f32_e32 v57, v77, v57
	v_fmac_f32_e32 v102, 0x3ee437d1, v156
	v_mul_f32_e32 v215, 0xbf4c4adb, v141
	v_fmac_f32_e32 v179, 0x3f7ee86f, v128
	v_mov_b32_e32 v180, v198
	v_add_f32_e32 v160, v161, v160
	v_mov_b32_e32 v161, v163
	v_add_f32_e32 v57, v79, v57
	v_add_f32_e32 v102, v102, v101
	v_fma_f32 v101, v125, s15, -v215
	v_mul_f32_e32 v216, 0x3f763a35, v142
	v_add_f32_e32 v177, v178, v177
	v_fma_f32 v178, v155, s19, -v199
	v_add_f32_e32 v179, v96, v179
	v_fmac_f32_e32 v180, 0x3e3c28d5, v130
	v_mul_f32_e32 v199, 0xbe8c1d8e, v149
	v_fmac_f32_e32 v161, 0x3f4c4adb, v132
	v_mul_f32_e32 v164, 0xbf7ba420, v151
	v_add_f32_e32 v53, v53, v57
	v_add_f32_e32 v101, v95, v101
	v_fma_f32 v103, v126, s17, -v216
	v_mul_f32_e32 v217, 0xbeb8f4ab, v143
	v_add_f32_e32 v179, v180, v179
	v_mov_b32_e32 v180, v199
	v_add_f32_e32 v160, v161, v160
	v_mov_b32_e32 v161, v164
	v_add_f32_e32 v53, v55, v53
	v_add_f32_e32 v101, v103, v101
	v_fma_f32 v103, v127, s19, -v217
	v_mul_f32_e32 v218, 0xbf06c442, v144
	v_add_f32_e32 v177, v178, v177
	v_fma_f32 v178, v156, s15, -v200
	v_fmac_f32_e32 v180, 0xbf763a35, v132
	v_mul_f32_e32 v200, 0x3f6eb680, v151
	v_fmac_f32_e32 v161, 0x3e3c28d5, v134
	v_mul_f32_e32 v165, 0xbf59a7d5, v153
	v_add_f32_e32 v1, v1, v53
	v_add_f32_e32 v101, v103, v101
	v_fma_f32 v103, v129, s21, -v218
	v_mul_f32_e32 v219, 0x3f7ee86f, v146
	v_fmac_f32_e32 v201, 0xbe8c1d8e, v125
	v_add_f32_e32 v179, v180, v179
	v_mov_b32_e32 v180, v200
	v_add_f32_e32 v160, v161, v160
	v_mov_b32_e32 v161, v165
	v_add_f32_e32 v1, v3, v1
	v_add_f32_e32 v3, v56, v95
	;; [unrolled: 1-line block ×3, first 2 shown]
	v_fma_f32 v103, v131, s20, -v219
	v_mul_f32_e32 v220, 0xbf2c7751, v148
	v_add_f32_e32 v178, v178, v177
	v_add_f32_e32 v177, v95, v201
	v_fmac_f32_e32 v180, 0xbeb8f4ab, v134
	v_mul_f32_e32 v201, 0x3ee437d1, v153
	v_fmac_f32_e32 v161, 0xbf06c442, v136
	v_mul_f32_e32 v166, 0xbe8c1d8e, v154
	v_add_f32_e32 v3, v58, v3
	v_add_f32_e32 v101, v103, v101
	v_fma_f32 v103, v133, s18, -v220
	v_mul_f32_e32 v221, 0xbe3c28d5, v150
	v_fmac_f32_e32 v202, 0xbf59a7d5, v126
	v_add_f32_e32 v179, v180, v179
	v_mov_b32_e32 v180, v201
	v_add_f32_e32 v160, v161, v160
	v_mov_b32_e32 v161, v166
	v_add_f32_e32 v3, v60, v3
	v_add_f32_e32 v101, v103, v101
	v_fma_f32 v103, v135, s16, -v221
	v_mul_f32_e32 v222, 0x3f65296c, v152
	v_add_f32_e32 v177, v202, v177
	v_fmac_f32_e32 v180, 0x3f65296c, v136
	v_mul_f32_e32 v202, 0xbf59a7d5, v154
	v_fmac_f32_e32 v161, 0xbf763a35, v137
	v_mul_f32_e32 v167, 0x3ee437d1, v155
	v_add_f32_e32 v3, v62, v3
	v_add_f32_e32 v101, v103, v101
	v_fma_f32 v103, v138, s14, -v222
	v_mul_f32_e32 v173, 0xbf06c442, v128
	v_fmac_f32_e32 v203, 0x3f3d2fb0, v127
	v_add_f32_e32 v179, v180, v179
	v_mov_b32_e32 v180, v202
	v_add_f32_e32 v160, v161, v160
	v_mov_b32_e32 v161, v167
	v_add_f32_e32 v3, v64, v3
	v_add_f32_e32 v101, v103, v101
	v_mov_b32_e32 v103, v173
	v_mul_f32_e32 v174, 0x3f65296c, v130
	v_add_f32_e32 v177, v203, v177
	v_fmac_f32_e32 v180, 0x3f06c442, v137
	v_mul_f32_e32 v203, 0xbf1a4643, v155
	v_fmac_f32_e32 v161, 0xbf65296c, v139
	v_mul_f32_e32 v168, 0x3f6eb680, v156
	v_add_f32_e32 v3, v66, v3
	v_fmac_f32_e32 v103, 0xbf59a7d5, v145
	v_mov_b32_e32 v104, v174
	v_fmac_f32_e32 v204, 0x3ee437d1, v129
	v_add_f32_e32 v179, v180, v179
	v_mov_b32_e32 v180, v203
	v_add_f32_e32 v160, v161, v160
	v_mov_b32_e32 v161, v168
	v_add_f32_e32 v3, v68, v3
	v_add_f32_e32 v103, v96, v103
	v_fmac_f32_e32 v104, 0x3ee437d1, v147
	v_mul_f32_e32 v223, 0xbf7ee86f, v132
	v_add_f32_e32 v177, v204, v177
	v_fmac_f32_e32 v180, 0xbf4c4adb, v139
	v_mul_f32_e32 v204, 0x3f3d2fb0, v156
	v_fmac_f32_e32 v161, 0xbeb8f4ab, v140
	v_mul_f32_e32 v169, 0xbf2c7751, v141
	v_add_f32_e32 v3, v70, v3
	v_add_f32_e32 v103, v104, v103
	v_mov_b32_e32 v104, v223
	v_fmac_f32_e32 v205, 0xbf7ba420, v131
	v_add_f32_e32 v179, v180, v179
	v_mov_b32_e32 v180, v204
	v_add_f32_e32 v161, v161, v160
	v_mov_b32_e32 v160, v169
	v_mul_f32_e32 v170, 0xbf7ee86f, v142
	v_add_f32_e32 v3, v72, v3
	v_fmac_f32_e32 v104, 0x3dbcf732, v149
	v_mul_f32_e32 v224, 0x3f4c4adb, v134
	v_add_f32_e32 v177, v205, v177
	v_fmac_f32_e32 v206, 0x3dbcf732, v133
	v_fmac_f32_e32 v180, 0xbf2c7751, v140
	v_mul_f32_e32 v205, 0xbf7ee86f, v141
	v_fmac_f32_e32 v160, 0x3f3d2fb0, v125
	v_mov_b32_e32 v171, v170
	v_add_f32_e32 v3, v74, v3
	v_add_f32_e32 v103, v104, v103
	v_mov_b32_e32 v104, v224
	v_add_f32_e32 v177, v206, v177
	v_fmac_f32_e32 v207, 0x3f6eb680, v135
	v_add_f32_e32 v180, v180, v179
	v_mov_b32_e32 v179, v205
	v_mul_f32_e32 v206, 0xbe3c28d5, v142
	v_add_f32_e32 v160, v95, v160
	v_fmac_f32_e32 v171, 0x3dbcf732, v126
	v_add_f32_e32 v3, v76, v3
	v_fmac_f32_e32 v104, 0xbf1a4643, v151
	v_mul_f32_e32 v225, 0xbeb8f4ab, v136
	v_add_f32_e32 v177, v207, v177
	v_fmac_f32_e32 v179, 0x3dbcf732, v125
	v_mov_b32_e32 v207, v206
	v_add_f32_e32 v160, v171, v160
	v_mul_f32_e32 v171, 0xbf4c4adb, v143
	v_add_f32_e32 v3, v78, v3
	v_add_f32_e32 v103, v104, v103
	v_mov_b32_e32 v104, v225
	v_add_f32_e32 v179, v95, v179
	v_fmac_f32_e32 v207, 0xbf7ba420, v126
	v_mov_b32_e32 v172, v171
	v_add_f32_e32 v3, v52, v3
	v_fmac_f32_e32 v104, 0x3f6eb680, v153
	v_mul_f32_e32 v226, 0xbe3c28d5, v137
	v_fmac_f32_e32 v208, 0xbf1a4643, v138
	v_add_f32_e32 v179, v207, v179
	v_mul_f32_e32 v207, 0x3f763a35, v143
	v_fmac_f32_e32 v172, 0xbf1a4643, v127
	v_add_f32_e32 v3, v54, v3
	v_add_f32_e32 v103, v104, v103
	v_mov_b32_e32 v104, v226
	v_add_f32_e32 v177, v208, v177
	v_mov_b32_e32 v208, v207
	v_add_f32_e32 v160, v172, v160
	v_mul_f32_e32 v172, 0xbe3c28d5, v144
	v_add_f32_e32 v0, v0, v3
	v_fmac_f32_e32 v197, 0xbf7ee86f, v128
	v_fmac_f32_e32 v104, 0xbf7ba420, v154
	v_mul_f32_e32 v227, 0x3f2c7751, v139
	v_fma_f32 v175, v145, s15, -v175
	v_fmac_f32_e32 v208, 0xbe8c1d8e, v127
	v_mov_b32_e32 v181, v172
	v_add_f32_e32 v0, v2, v0
	v_add_f32_e32 v2, v96, v197
	v_fmac_f32_e32 v198, 0xbe3c28d5, v130
	v_add_f32_e32 v103, v104, v103
	v_mov_b32_e32 v104, v227
	v_add_f32_e32 v175, v96, v175
	v_fma_f32 v176, v147, s17, -v176
	v_add_f32_e32 v179, v208, v179
	v_mul_f32_e32 v208, 0x3eb8f4ab, v144
	v_fmac_f32_e32 v181, 0xbf7ba420, v129
	v_add_f32_e32 v2, v198, v2
	v_fmac_f32_e32 v199, 0x3f763a35, v132
	v_fmac_f32_e32 v104, 0x3f3d2fb0, v155
	v_mul_f32_e32 v228, 0xbf763a35, v140
	v_add_f32_e32 v175, v176, v175
	v_fma_f32 v176, v149, s19, -v209
	v_mov_b32_e32 v209, v208
	v_add_f32_e32 v160, v181, v160
	v_mul_f32_e32 v181, 0x3f06c442, v146
	v_add_f32_e32 v2, v199, v2
	v_fmac_f32_e32 v200, 0x3eb8f4ab, v134
	v_add_f32_e32 v103, v104, v103
	v_mov_b32_e32 v104, v228
	v_fmac_f32_e32 v209, 0x3f6eb680, v129
	v_mov_b32_e32 v182, v181
	v_add_f32_e32 v2, v200, v2
	v_fmac_f32_e32 v201, 0xbf65296c, v136
	v_fmac_f32_e32 v104, 0xbe8c1d8e, v156
	v_mul_f32_e32 v229, 0xbf06c442, v141
	v_add_f32_e32 v179, v209, v179
	v_mul_f32_e32 v209, 0xbf65296c, v146
	v_fmac_f32_e32 v182, 0xbf59a7d5, v131
	v_add_f32_e32 v2, v201, v2
	v_fmac_f32_e32 v202, 0xbf06c442, v137
	v_add_f32_e32 v104, v104, v103
	v_fma_f32 v103, v125, s21, -v229
	v_mul_f32_e32 v230, 0x3f65296c, v142
	v_add_f32_e32 v175, v176, v175
	v_fma_f32 v176, v151, s21, -v210
	v_mov_b32_e32 v210, v209
	v_add_f32_e32 v160, v182, v160
	v_mul_f32_e32 v182, 0x3f763a35, v148
	v_add_f32_e32 v2, v202, v2
	v_fmac_f32_e32 v203, 0x3f4c4adb, v139
	v_add_f32_e32 v103, v95, v103
	v_fma_f32 v105, v126, s14, -v230
	v_mul_f32_e32 v231, 0xbf7ee86f, v143
	v_fmac_f32_e32 v210, 0x3ee437d1, v131
	v_mov_b32_e32 v183, v182
	v_add_f32_e32 v2, v203, v2
	v_fmac_f32_e32 v204, 0x3f2c7751, v140
	v_add_f32_e32 v103, v105, v103
	v_fma_f32 v105, v127, s20, -v231
	v_mul_f32_e32 v232, 0x3f4c4adb, v144
	v_add_f32_e32 v179, v210, v179
	v_mul_f32_e32 v210, 0xbf06c442, v148
	v_fmac_f32_e32 v183, 0xbe8c1d8e, v133
	v_add_f32_e32 v3, v204, v2
	v_fma_f32 v2, v125, s20, -v205
	v_add_f32_e32 v103, v105, v103
	v_fma_f32 v105, v129, s15, -v232
	v_mul_f32_e32 v233, 0xbeb8f4ab, v146
	v_add_f32_e32 v175, v176, v175
	v_fma_f32 v176, v153, s20, -v211
	v_mov_b32_e32 v211, v210
	v_add_f32_e32 v160, v183, v160
	v_mul_f32_e32 v183, 0x3f65296c, v150
	v_add_f32_e32 v2, v95, v2
	v_fma_f32 v52, v126, s16, -v206
	v_add_f32_e32 v103, v105, v103
	v_fma_f32 v105, v131, s19, -v233
	v_mul_f32_e32 v234, 0xbe3c28d5, v148
	v_fmac_f32_e32 v211, 0xbf59a7d5, v133
	v_mov_b32_e32 v184, v183
	v_add_f32_e32 v2, v52, v2
	v_fma_f32 v52, v127, s17, -v207
	v_add_f32_e32 v103, v105, v103
	v_fma_f32 v105, v133, s16, -v234
	v_mul_f32_e32 v235, 0x3f2c7751, v150
	v_add_f32_e32 v179, v211, v179
	v_mul_f32_e32 v211, 0x3f4c4adb, v150
	v_fmac_f32_e32 v184, 0x3ee437d1, v135
	v_add_f32_e32 v2, v52, v2
	v_fma_f32 v52, v129, s19, -v208
	v_add_f32_e32 v103, v105, v103
	v_fma_f32 v105, v135, s18, -v235
	v_mul_f32_e32 v236, 0xbf763a35, v152
	v_add_f32_e32 v175, v176, v175
	v_fma_f32 v176, v154, s18, -v212
	v_mov_b32_e32 v212, v211
	v_add_f32_e32 v160, v184, v160
	v_mul_f32_e32 v184, 0x3eb8f4ab, v152
	v_add_f32_e32 v2, v52, v2
	v_fma_f32 v52, v131, s14, -v209
	v_add_f32_e32 v103, v105, v103
	v_fma_f32 v105, v138, s17, -v236
	v_mul_f32_e32 v107, 0xbe3c28d5, v128
	v_fmac_f32_e32 v212, 0xbf1a4643, v135
	v_mov_b32_e32 v185, v184
	v_add_f32_e32 v2, v52, v2
	v_fma_f32 v52, v133, s21, -v210
	v_add_f32_e32 v103, v105, v103
	v_mov_b32_e32 v105, v107
	v_mul_f32_e32 v108, 0x3eb8f4ab, v130
	v_add_f32_e32 v179, v212, v179
	v_mul_f32_e32 v212, 0x3f2c7751, v152
	v_fmac_f32_e32 v185, 0x3f6eb680, v138
	v_add_f32_e32 v2, v52, v2
	v_fma_f32 v52, v135, s15, -v211
	v_fmac_f32_e32 v105, 0xbf7ba420, v145
	v_mov_b32_e32 v106, v108
	v_add_f32_e32 v160, v185, v160
	v_mul_f32_e32 v185, 0x3f6eb680, v145
	v_add_f32_e32 v2, v52, v2
	v_fma_f32 v52, v138, s18, -v212
	v_fmac_f32_e32 v157, 0xbf2c7751, v128
	v_add_f32_e32 v105, v96, v105
	v_fmac_f32_e32 v106, 0x3f6eb680, v147
	v_mul_f32_e32 v237, 0xbf06c442, v132
	v_fma_f32 v107, v145, s16, -v107
	v_fma_f32 v108, v147, s19, -v108
	v_fma_f32 v173, v145, s21, -v173
	v_fma_f32 v174, v147, s14, -v174
	v_mov_b32_e32 v145, v185
	v_mul_f32_e32 v147, 0x3f3d2fb0, v147
	v_add_f32_e32 v2, v52, v2
	v_add_f32_e32 v52, v96, v157
	v_fmac_f32_e32 v162, 0xbf7ee86f, v130
	v_add_f32_e32 v105, v106, v105
	v_mov_b32_e32 v106, v237
	v_add_f32_e32 v107, v96, v107
	v_add_f32_e32 v173, v96, v173
	v_fmac_f32_e32 v145, 0x3eb8f4ab, v128
	v_mov_b32_e32 v186, v147
	v_add_f32_e32 v52, v162, v52
	v_fmac_f32_e32 v163, 0xbf4c4adb, v132
	v_fmac_f32_e32 v106, 0xbf59a7d5, v149
	v_mul_f32_e32 v238, 0x3f2c7751, v134
	v_add_f32_e32 v107, v108, v107
	v_fma_f32 v108, v149, s21, -v237
	v_add_f32_e32 v173, v174, v173
	v_fma_f32 v174, v149, s20, -v223
	v_add_f32_e32 v145, v96, v145
	v_fmac_f32_e32 v186, 0x3f2c7751, v130
	v_mul_f32_e32 v149, 0x3ee437d1, v149
	v_add_f32_e32 v52, v163, v52
	v_fmac_f32_e32 v164, 0xbe3c28d5, v134
	v_add_f32_e32 v105, v106, v105
	v_mov_b32_e32 v106, v238
	v_add_f32_e32 v145, v186, v145
	v_mov_b32_e32 v186, v149
	v_add_f32_e32 v52, v164, v52
	v_fmac_f32_e32 v165, 0x3f06c442, v136
	v_fmac_f32_e32 v106, 0x3f3d2fb0, v151
	v_mul_f32_e32 v239, 0xbf4c4adb, v136
	v_add_f32_e32 v107, v108, v107
	v_fma_f32 v108, v151, s18, -v238
	v_add_f32_e32 v173, v174, v173
	v_fma_f32 v174, v151, s15, -v224
	v_fmac_f32_e32 v186, 0x3f65296c, v132
	v_mul_f32_e32 v151, 0x3dbcf732, v151
	v_add_f32_e32 v52, v165, v52
	v_fmac_f32_e32 v166, 0x3f763a35, v137
	v_add_f32_e32 v105, v106, v105
	v_mov_b32_e32 v106, v239
	v_add_f32_e32 v145, v186, v145
	v_mov_b32_e32 v186, v151
	v_add_f32_e32 v52, v166, v52
	v_fmac_f32_e32 v167, 0x3f65296c, v139
	v_fmac_f32_e32 v106, 0xbf1a4643, v153
	v_mul_f32_e32 v240, 0x3f65296c, v137
	v_add_f32_e32 v107, v108, v107
	v_fma_f32 v108, v153, s15, -v239
	v_add_f32_e32 v173, v174, v173
	v_fma_f32 v174, v153, s19, -v225
	v_fmac_f32_e32 v186, 0x3f7ee86f, v134
	v_mul_f32_e32 v153, 0xbe8c1d8e, v153
	v_add_f32_e32 v52, v167, v52
	v_fmac_f32_e32 v168, 0x3eb8f4ab, v140
	v_add_f32_e32 v105, v106, v105
	v_mov_b32_e32 v106, v240
	v_add_f32_e32 v145, v186, v145
	v_mov_b32_e32 v186, v153
	v_add_f32_e32 v53, v168, v52
	v_fma_f32 v52, v125, s18, -v169
	v_fmac_f32_e32 v106, 0x3ee437d1, v154
	v_mul_f32_e32 v241, 0xbf763a35, v139
	v_add_f32_e32 v107, v108, v107
	v_fma_f32 v108, v154, s14, -v240
	v_add_f32_e32 v173, v174, v173
	v_fma_f32 v174, v154, s16, -v226
	v_fmac_f32_e32 v186, 0x3f763a35, v136
	v_mul_f32_e32 v154, 0xbf1a4643, v154
	v_add_f32_e32 v52, v95, v52
	v_fma_f32 v54, v126, s20, -v170
	v_add_f32_e32 v105, v106, v105
	v_mov_b32_e32 v106, v241
	v_add_f32_e32 v145, v186, v145
	v_mov_b32_e32 v186, v154
	v_add_f32_e32 v52, v54, v52
	v_fma_f32 v54, v127, s15, -v171
	v_fmac_f32_e32 v106, 0xbe8c1d8e, v155
	v_mul_f32_e32 v242, 0x3f7ee86f, v140
	v_add_f32_e32 v107, v108, v107
	v_fma_f32 v108, v155, s17, -v241
	v_add_f32_e32 v173, v174, v173
	v_fma_f32 v174, v155, s18, -v227
	;; [unrolled: 2-line block ×3, first 2 shown]
	v_fmac_f32_e32 v186, 0x3f4c4adb, v137
	v_mul_f32_e32 v155, 0xbf59a7d5, v155
	v_add_f32_e32 v52, v54, v52
	v_fma_f32 v54, v129, s16, -v172
	v_add_f32_e32 v105, v106, v105
	v_mov_b32_e32 v106, v242
	v_add_f32_e32 v145, v186, v145
	v_mov_b32_e32 v186, v155
	v_add_f32_e32 v52, v54, v52
	v_fma_f32 v54, v131, s21, -v181
	v_fmac_f32_e32 v106, 0x3dbcf732, v156
	v_add_f32_e32 v107, v108, v107
	v_fma_f32 v108, v156, s20, -v242
	v_add_f32_e32 v173, v174, v173
	v_fma_f32 v174, v156, s17, -v228
	;; [unrolled: 2-line block ×3, first 2 shown]
	v_fmac_f32_e32 v186, 0x3f06c442, v139
	v_mul_f32_e32 v156, 0xbf7ba420, v156
	v_add_f32_e32 v52, v54, v52
	v_fma_f32 v54, v133, s17, -v182
	v_add_f32_e32 v145, v186, v145
	v_mov_b32_e32 v186, v156
	v_add_f32_e32 v52, v54, v52
	v_fma_f32 v54, v135, s14, -v183
	v_mul_f32_e32 v243, 0xbe3c28d5, v141
	v_fmac_f32_e32 v186, 0x3e3c28d5, v140
	v_mul_f32_e32 v141, 0xbeb8f4ab, v141
	v_add_f32_e32 v52, v54, v52
	v_fma_f32 v54, v138, s19, -v184
	v_fmac_f32_e32 v185, 0xbeb8f4ab, v128
	v_add_f32_e32 v106, v106, v105
	v_fma_f32 v105, v125, s16, -v243
	v_mul_f32_e32 v244, 0x3eb8f4ab, v142
	v_add_f32_e32 v145, v186, v145
	v_mov_b32_e32 v186, v141
	v_mul_f32_e32 v142, 0xbf2c7751, v142
	v_add_f32_e32 v52, v54, v52
	v_add_f32_e32 v54, v96, v185
	v_fmac_f32_e32 v147, 0xbf2c7751, v130
	v_add_f32_e32 v105, v95, v105
	v_fma_f32 v245, v126, s19, -v244
	v_fmac_f32_e32 v186, 0x3f6eb680, v125
	v_mov_b32_e32 v187, v142
	v_add_f32_e32 v54, v147, v54
	v_fmac_f32_e32 v149, 0xbf65296c, v132
	v_add_f32_e32 v105, v245, v105
	v_mul_f32_e32 v245, 0xbf06c442, v143
	v_add_f32_e32 v186, v95, v186
	v_fmac_f32_e32 v187, 0x3f3d2fb0, v126
	v_mul_f32_e32 v143, 0xbf65296c, v143
	v_add_f32_e32 v54, v149, v54
	v_fmac_f32_e32 v151, 0xbf7ee86f, v134
	v_add_f32_e32 v186, v187, v186
	v_mov_b32_e32 v187, v143
	v_add_f32_e32 v54, v151, v54
	v_fmac_f32_e32 v153, 0xbf763a35, v136
	v_fma_f32 v246, v127, s21, -v245
	v_fmac_f32_e32 v187, 0x3ee437d1, v127
	v_add_f32_e32 v54, v153, v54
	v_fmac_f32_e32 v154, 0xbf4c4adb, v137
	v_add_f32_e32 v105, v246, v105
	v_mul_f32_e32 v246, 0x3f2c7751, v144
	v_add_f32_e32 v186, v187, v186
	v_mul_f32_e32 v187, 0xbf7ee86f, v144
	v_add_f32_e32 v54, v154, v54
	v_fmac_f32_e32 v155, 0xbf06c442, v139
	v_fma_f32 v247, v129, s18, -v246
	v_mov_b32_e32 v144, v187
	v_add_f32_e32 v54, v155, v54
	v_fmac_f32_e32 v156, 0xbe3c28d5, v140
	v_add_f32_e32 v105, v247, v105
	v_mul_f32_e32 v247, 0xbf4c4adb, v146
	v_fmac_f32_e32 v144, 0x3dbcf732, v129
	v_mul_f32_e32 v146, 0xbf763a35, v146
	v_add_f32_e32 v55, v156, v54
	v_fma_f32 v54, v125, s19, -v141
	v_fma_f32 v248, v131, s15, -v247
	v_add_f32_e32 v144, v144, v186
	v_mov_b32_e32 v186, v146
	v_add_f32_e32 v54, v95, v54
	v_fma_f32 v56, v126, s18, -v142
	v_add_f32_e32 v105, v248, v105
	v_mul_f32_e32 v248, 0x3f65296c, v148
	v_fmac_f32_e32 v243, 0xbf7ba420, v125
	v_fmac_f32_e32 v229, 0xbf59a7d5, v125
	;; [unrolled: 1-line block ×4, first 2 shown]
	v_mul_f32_e32 v148, 0xbf4c4adb, v148
	v_add_f32_e32 v54, v56, v54
	v_fma_f32 v56, v127, s14, -v143
	v_fma_f32 v249, v133, s14, -v248
	v_add_f32_e32 v108, v108, v107
	v_add_f32_e32 v107, v95, v243
	v_fmac_f32_e32 v244, 0x3f6eb680, v126
	v_add_f32_e32 v174, v174, v173
	v_add_f32_e32 v173, v95, v229
	v_fmac_f32_e32 v230, 0x3ee437d1, v126
	;; [unrolled: 3-line block ×3, first 2 shown]
	v_add_f32_e32 v144, v186, v144
	v_mov_b32_e32 v186, v148
	v_add_f32_e32 v54, v56, v54
	v_fma_f32 v56, v129, s20, -v187
	v_add_f32_e32 v105, v249, v105
	v_mul_f32_e32 v249, 0xbf763a35, v150
	v_add_f32_e32 v107, v244, v107
	v_fmac_f32_e32 v245, 0xbf59a7d5, v127
	v_add_f32_e32 v173, v230, v173
	v_fmac_f32_e32 v231, 0x3dbcf732, v127
	;; [unrolled: 2-line block ×3, first 2 shown]
	v_fmac_f32_e32 v186, 0xbf1a4643, v133
	v_mul_f32_e32 v150, 0xbf06c442, v150
	v_add_f32_e32 v54, v56, v54
	v_fma_f32 v56, v131, s17, -v146
	v_fma_f32 v250, v135, s17, -v249
	v_add_f32_e32 v107, v245, v107
	v_fmac_f32_e32 v246, 0x3f3d2fb0, v129
	v_add_f32_e32 v173, v231, v173
	v_fmac_f32_e32 v232, 0xbf1a4643, v129
	;; [unrolled: 2-line block ×3, first 2 shown]
	v_add_f32_e32 v144, v186, v144
	v_mov_b32_e32 v186, v150
	v_add_f32_e32 v54, v56, v54
	v_fma_f32 v56, v133, s15, -v148
	v_add_f32_e32 v105, v250, v105
	v_mul_f32_e32 v250, 0x3f7ee86f, v152
	v_add_f32_e32 v107, v246, v107
	v_fmac_f32_e32 v247, 0xbf1a4643, v131
	v_add_f32_e32 v173, v232, v173
	v_fmac_f32_e32 v233, 0x3f6eb680, v131
	v_add_f32_e32 v175, v218, v175
	v_fmac_f32_e32 v219, 0x3dbcf732, v131
	v_fmac_f32_e32 v186, 0xbf59a7d5, v135
	v_mul_f32_e32 v152, 0xbe3c28d5, v152
	v_add_f32_e32 v54, v56, v54
	v_fma_f32 v56, v135, s21, -v150
	v_add_f32_e32 v107, v247, v107
	v_fmac_f32_e32 v248, 0x3ee437d1, v133
	v_add_f32_e32 v173, v233, v173
	v_fmac_f32_e32 v234, 0xbf7ba420, v133
	;; [unrolled: 2-line block ×3, first 2 shown]
	v_add_f32_e32 v144, v186, v144
	v_mov_b32_e32 v186, v152
	v_add_f32_e32 v54, v56, v54
	v_fma_f32 v56, v138, s16, -v152
	v_add_f32_e32 v107, v248, v107
	v_fmac_f32_e32 v249, 0xbe8c1d8e, v135
	v_add_f32_e32 v173, v234, v173
	v_fmac_f32_e32 v235, 0x3f3d2fb0, v135
	;; [unrolled: 2-line block ×3, first 2 shown]
	v_mov_b32_e32 v213, v212
	v_fmac_f32_e32 v186, 0xbf7ba420, v138
	v_add_f32_e32 v54, v56, v54
	v_mul_lo_u16_e32 v56, 17, v110
	v_fma_f32 v251, v138, s20, -v250
	v_add_f32_e32 v107, v249, v107
	v_fmac_f32_e32 v250, 0x3dbcf732, v138
	v_add_f32_e32 v173, v235, v173
	v_fmac_f32_e32 v236, 0xbe8c1d8e, v138
	;; [unrolled: 2-line block ×3, first 2 shown]
	v_fmac_f32_e32 v213, 0x3f3d2fb0, v138
	v_add_f32_e32 v144, v186, v144
	v_lshl_add_u32 v56, v56, 3, v111
	v_add_f32_e32 v105, v251, v105
	v_add_f32_e32 v107, v250, v107
	;; [unrolled: 1-line block ×5, first 2 shown]
	ds_write2_b64 v56, v[0:1], v[144:145] offset1:1
	ds_write2_b64 v56, v[160:161], v[158:159] offset0:2 offset1:3
	ds_write2_b64 v56, v[179:180], v[177:178] offset0:4 offset1:5
	;; [unrolled: 1-line block ×7, first 2 shown]
	ds_write_b64 v56, v[54:55] offset:128
.LBB0_17:
	s_or_b64 exec, exec, s[12:13]
	v_add_u32_e32 v78, 0xc00, v112
	s_waitcnt lgkmcnt(0)
	s_barrier
	ds_read2_b64 v[52:55], v78 offset0:126 offset1:211
	v_add_u32_e32 v56, 0x1000, v112
	ds_read2_b64 v[0:3], v112 offset1:85
	ds_read2_b64 v[56:59], v56 offset0:168 offset1:253
	ds_read2_b64 v[60:63], v112 offset0:170 offset1:255
	v_add_u32_e32 v64, 0x1800, v112
	ds_read2_b64 v[64:67], v64 offset0:82 offset1:167
	s_waitcnt lgkmcnt(4)
	v_mul_f32_e32 v76, v88, v55
	v_add_u32_e32 v79, 0x1c00, v112
	v_fmac_f32_e32 v76, v87, v54
	v_mul_f32_e32 v54, v88, v54
	ds_read2_b64 v[72:75], v79 offset0:124 offset1:209
	v_fma_f32 v54, v87, v55, -v54
	s_waitcnt lgkmcnt(3)
	v_mul_f32_e32 v55, v86, v57
	v_fmac_f32_e32 v55, v85, v56
	v_mul_f32_e32 v56, v86, v56
	v_add_u32_e32 v68, 0x800, v112
	v_fma_f32 v77, v85, v57, -v56
	v_mul_f32_e32 v85, v84, v59
	v_mul_f32_e32 v56, v84, v58
	ds_read2_b64 v[68:71], v68 offset0:84 offset1:169
	v_fmac_f32_e32 v85, v83, v58
	v_fma_f32 v83, v83, v59, -v56
	s_waitcnt lgkmcnt(2)
	v_mul_f32_e32 v84, v82, v65
	v_mul_f32_e32 v56, v82, v64
	v_fmac_f32_e32 v84, v81, v64
	v_fma_f32 v81, v81, v65, -v56
	v_mul_f32_e32 v56, v90, v66
	v_mul_f32_e32 v82, v90, v67
	v_fma_f32 v86, v89, v67, -v56
	s_waitcnt lgkmcnt(1)
	v_mul_f32_e32 v56, v94, v72
	v_fmac_f32_e32 v82, v89, v66
	v_mul_f32_e32 v87, v94, v73
	v_fma_f32 v88, v93, v73, -v56
	v_mul_f32_e32 v89, v92, v75
	v_mul_f32_e32 v56, v92, v74
	v_fmac_f32_e32 v87, v93, v72
	v_fmac_f32_e32 v89, v91, v74
	v_fma_f32 v90, v91, v75, -v56
	v_sub_f32_e32 v56, v0, v76
	v_sub_f32_e32 v57, v1, v54
	;; [unrolled: 1-line block ×5, first 2 shown]
	v_fma_f32 v58, v0, 2.0, -v56
	v_fma_f32 v59, v1, 2.0, -v57
	;; [unrolled: 1-line block ×4, first 2 shown]
	v_sub_f32_e32 v73, v61, v83
	v_fma_f32 v60, v60, 2.0, -v72
	v_sub_f32_e32 v74, v62, v84
	v_sub_f32_e32 v75, v63, v81
	s_waitcnt lgkmcnt(0)
	v_sub_f32_e32 v76, v68, v82
	v_sub_f32_e32 v77, v69, v86
	;; [unrolled: 1-line block ×6, first 2 shown]
	v_fma_f32 v61, v61, 2.0, -v73
	v_fma_f32 v62, v62, 2.0, -v74
	;; [unrolled: 1-line block ×9, first 2 shown]
	s_barrier
	ds_write2_b64 v116, v[58:59], v[56:57] offset1:17
	ds_write2_b64 v117, v[66:67], v[64:65] offset1:17
	;; [unrolled: 1-line block ×7, first 2 shown]
	v_add_u32_e32 v60, 0x400, v112
	v_add_u32_e32 v76, 0x1400, v112
	s_waitcnt lgkmcnt(0)
	s_barrier
	ds_read2_b64 v[56:59], v112 offset1:85
	ds_read2_b64 v[72:75], v60 offset0:110 offset1:195
	ds_read2_b64 v[68:71], v78 offset0:92 offset1:177
	;; [unrolled: 1-line block ×4, first 2 shown]
	s_and_saveexec_b64 s[12:13], s[2:3]
	s_cbranch_execz .LBB0_19
; %bb.18:
	v_add_u32_e32 v0, 0x500, v112
	ds_read2_b64 v[0:3], v0 offset0:10 offset1:248
	ds_read2_b64 v[52:55], v76 offset0:6 offset1:244
	ds_read_b64 v[97:98], v112 offset:8976
.LBB0_19:
	s_or_b64 exec, exec, s[12:13]
	s_waitcnt lgkmcnt(3)
	v_mul_f32_e32 v77, v21, v73
	v_mul_f32_e32 v21, v21, v72
	v_fmac_f32_e32 v77, v20, v72
	v_fma_f32 v72, v20, v73, -v21
	s_waitcnt lgkmcnt(2)
	v_mul_f32_e32 v21, v23, v69
	v_mul_f32_e32 v20, v23, v68
	s_waitcnt lgkmcnt(1)
	v_mul_f32_e32 v23, v13, v65
	v_mul_f32_e32 v13, v13, v64
	v_fmac_f32_e32 v23, v12, v64
	v_fma_f32 v64, v12, v65, -v13
	s_waitcnt lgkmcnt(0)
	v_mul_f32_e32 v65, v15, v61
	v_mul_f32_e32 v12, v15, v60
	v_fmac_f32_e32 v21, v22, v68
	v_fmac_f32_e32 v65, v14, v60
	v_fma_f32 v60, v14, v61, -v12
	v_mul_f32_e32 v12, v25, v74
	v_fma_f32 v22, v22, v69, -v20
	v_fma_f32 v68, v24, v75, -v12
	v_mul_f32_e32 v69, v27, v71
	v_mul_f32_e32 v12, v27, v70
	v_add_f32_e32 v13, v21, v23
	v_fmac_f32_e32 v69, v26, v70
	v_fma_f32 v70, v26, v71, -v12
	v_mul_f32_e32 v71, v17, v67
	v_mul_f32_e32 v12, v17, v66
	v_fma_f32 v14, -0.5, v13, v56
	v_fmac_f32_e32 v71, v16, v66
	v_fma_f32 v66, v16, v67, -v12
	v_mul_f32_e32 v27, v19, v63
	v_mul_f32_e32 v12, v19, v62
	v_sub_f32_e32 v13, v72, v60
	v_mov_b32_e32 v16, v14
	v_fmac_f32_e32 v27, v18, v62
	v_fma_f32 v62, v18, v63, -v12
	v_fmac_f32_e32 v16, 0xbf737871, v13
	v_sub_f32_e32 v15, v22, v64
	v_sub_f32_e32 v17, v77, v21
	v_sub_f32_e32 v18, v65, v23
	v_fmac_f32_e32 v14, 0x3f737871, v13
	v_fmac_f32_e32 v16, 0xbf167918, v15
	v_add_f32_e32 v17, v17, v18
	v_fmac_f32_e32 v14, 0x3f167918, v15
	v_fmac_f32_e32 v16, 0x3e9e377a, v17
	;; [unrolled: 1-line block ×3, first 2 shown]
	v_add_f32_e32 v17, v77, v65
	v_fma_f32 v18, -0.5, v17, v56
	v_mov_b32_e32 v20, v18
	v_fmac_f32_e32 v20, 0x3f737871, v15
	v_sub_f32_e32 v17, v21, v77
	v_sub_f32_e32 v19, v23, v65
	v_fmac_f32_e32 v18, 0xbf737871, v15
	v_add_f32_e32 v15, v22, v64
	v_mul_f32_e32 v61, v25, v75
	v_add_f32_e32 v12, v56, v77
	v_fmac_f32_e32 v20, 0xbf167918, v13
	v_add_f32_e32 v17, v17, v19
	v_fmac_f32_e32 v18, 0x3f167918, v13
	v_fma_f32 v15, -0.5, v15, v57
	v_fmac_f32_e32 v61, v24, v74
	v_add_f32_e32 v12, v12, v21
	v_fmac_f32_e32 v20, 0x3e9e377a, v17
	v_fmac_f32_e32 v18, 0x3e9e377a, v17
	v_sub_f32_e32 v24, v77, v65
	v_mov_b32_e32 v17, v15
	v_add_f32_e32 v12, v12, v23
	v_fmac_f32_e32 v17, 0x3f737871, v24
	v_sub_f32_e32 v23, v21, v23
	v_sub_f32_e32 v19, v72, v22
	;; [unrolled: 1-line block ×3, first 2 shown]
	v_fmac_f32_e32 v15, 0xbf737871, v24
	v_fmac_f32_e32 v17, 0x3f167918, v23
	v_add_f32_e32 v19, v19, v21
	v_fmac_f32_e32 v15, 0xbf167918, v23
	v_fmac_f32_e32 v17, 0x3e9e377a, v19
	;; [unrolled: 1-line block ×3, first 2 shown]
	v_add_f32_e32 v19, v72, v60
	v_fma_f32 v19, -0.5, v19, v57
	v_mov_b32_e32 v21, v19
	v_fmac_f32_e32 v21, 0xbf737871, v23
	v_fmac_f32_e32 v19, 0x3f737871, v23
	v_add_f32_e32 v23, v69, v71
	v_add_f32_e32 v13, v57, v72
	v_fmac_f32_e32 v21, 0x3f167918, v24
	v_fmac_f32_e32 v19, 0xbf167918, v24
	v_fma_f32 v24, -0.5, v23, v58
	v_add_f32_e32 v13, v13, v22
	v_sub_f32_e32 v22, v22, v72
	v_sub_f32_e32 v25, v64, v60
	;; [unrolled: 1-line block ×3, first 2 shown]
	v_mov_b32_e32 v26, v24
	v_add_f32_e32 v22, v22, v25
	v_fmac_f32_e32 v26, 0xbf737871, v23
	v_sub_f32_e32 v25, v70, v66
	v_sub_f32_e32 v56, v61, v69
	;; [unrolled: 1-line block ×3, first 2 shown]
	v_fmac_f32_e32 v24, 0x3f737871, v23
	v_fmac_f32_e32 v26, 0xbf167918, v25
	v_add_f32_e32 v56, v56, v57
	v_fmac_f32_e32 v24, 0x3f167918, v25
	v_fmac_f32_e32 v26, 0x3e9e377a, v56
	;; [unrolled: 1-line block ×3, first 2 shown]
	v_add_f32_e32 v56, v61, v27
	v_fmac_f32_e32 v21, 0x3e9e377a, v22
	v_fmac_f32_e32 v19, 0x3e9e377a, v22
	v_add_f32_e32 v22, v58, v61
	v_fma_f32 v58, -0.5, v56, v58
	v_mov_b32_e32 v56, v58
	v_add_f32_e32 v13, v13, v64
	v_add_f32_e32 v22, v22, v69
	v_fmac_f32_e32 v56, 0x3f737871, v25
	v_fmac_f32_e32 v58, 0xbf737871, v25
	v_add_f32_e32 v25, v70, v66
	v_add_f32_e32 v13, v13, v60
	;; [unrolled: 1-line block ×3, first 2 shown]
	v_sub_f32_e32 v57, v69, v61
	v_sub_f32_e32 v60, v71, v27
	v_fma_f32 v25, -0.5, v25, v59
	v_add_f32_e32 v22, v22, v27
	v_fmac_f32_e32 v56, 0xbf167918, v23
	v_add_f32_e32 v57, v57, v60
	v_fmac_f32_e32 v58, 0x3f167918, v23
	v_sub_f32_e32 v60, v61, v27
	v_mov_b32_e32 v27, v25
	v_fmac_f32_e32 v56, 0x3e9e377a, v57
	v_fmac_f32_e32 v58, 0x3e9e377a, v57
	;; [unrolled: 1-line block ×3, first 2 shown]
	v_sub_f32_e32 v61, v69, v71
	v_sub_f32_e32 v57, v68, v70
	;; [unrolled: 1-line block ×3, first 2 shown]
	v_fmac_f32_e32 v25, 0xbf737871, v60
	v_fmac_f32_e32 v27, 0x3f167918, v61
	v_add_f32_e32 v57, v57, v63
	v_fmac_f32_e32 v25, 0xbf167918, v61
	v_add_f32_e32 v23, v59, v68
	v_fmac_f32_e32 v27, 0x3e9e377a, v57
	v_fmac_f32_e32 v25, 0x3e9e377a, v57
	v_add_f32_e32 v57, v68, v62
	v_add_f32_e32 v23, v23, v70
	v_fmac_f32_e32 v59, -0.5, v57
	v_add_f32_e32 v23, v23, v66
	v_mov_b32_e32 v57, v59
	v_add_f32_e32 v23, v23, v62
	v_fmac_f32_e32 v57, 0xbf737871, v61
	v_sub_f32_e32 v63, v70, v68
	v_sub_f32_e32 v62, v66, v62
	v_fmac_f32_e32 v59, 0x3f737871, v61
	v_add_u32_e32 v76, 0x2a8, v113
	v_add_f32_e32 v12, v12, v65
	v_fmac_f32_e32 v57, 0x3f167918, v60
	v_add_f32_e32 v62, v63, v62
	v_fmac_f32_e32 v59, 0xbf167918, v60
	v_fmac_f32_e32 v57, 0x3e9e377a, v62
	;; [unrolled: 1-line block ×3, first 2 shown]
	s_barrier
	ds_write2_b64 v123, v[12:13], v[16:17] offset1:34
	ds_write2_b64 v123, v[20:21], v[18:19] offset0:68 offset1:102
	ds_write_b64 v123, v[14:15] offset:1088
	ds_write2_b64 v124, v[22:23], v[26:27] offset1:34
	ds_write2_b64 v124, v[56:57], v[58:59] offset0:68 offset1:102
	ds_write_b64 v124, v[24:25] offset:1088
	s_and_saveexec_b64 s[12:13], s[2:3]
	s_cbranch_execz .LBB0_21
; %bb.20:
	v_mul_f32_e32 v12, v11, v52
	v_mul_f32_e32 v13, v9, v2
	;; [unrolled: 1-line block ×4, first 2 shown]
	v_fma_f32 v12, v10, v53, -v12
	v_fma_f32 v13, v8, v3, -v13
	;; [unrolled: 1-line block ×4, first 2 shown]
	v_sub_f32_e32 v14, v12, v13
	v_sub_f32_e32 v17, v15, v16
	v_mul_f32_e32 v18, v7, v98
	v_mul_f32_e32 v11, v11, v53
	v_add_f32_e32 v14, v17, v14
	v_mul_f32_e32 v17, v9, v3
	v_fmac_f32_e32 v18, v6, v97
	v_fmac_f32_e32 v11, v10, v52
	v_mul_f32_e32 v10, v5, v55
	v_sub_f32_e32 v6, v13, v12
	v_sub_f32_e32 v7, v16, v15
	v_fmac_f32_e32 v17, v8, v2
	v_add_f32_e32 v2, v16, v13
	v_fmac_f32_e32 v10, v4, v54
	v_add_f32_e32 v24, v7, v6
	v_add_f32_e32 v6, v15, v12
	v_fma_f32 v3, -0.5, v2, v1
	v_sub_f32_e32 v2, v11, v17
	v_sub_f32_e32 v4, v10, v18
	v_fma_f32 v7, -0.5, v6, v1
	v_sub_f32_e32 v6, v17, v11
	v_sub_f32_e32 v8, v18, v10
	v_add_f32_e32 v21, v4, v2
	v_add_f32_e32 v2, v18, v17
	;; [unrolled: 1-line block ×4, first 2 shown]
	v_fma_f32 v2, -0.5, v2, v0
	v_fma_f32 v6, -0.5, v6, v0
	v_add_f32_e32 v0, v0, v17
	v_sub_f32_e32 v19, v17, v18
	v_sub_f32_e32 v23, v13, v16
	v_mov_b32_e32 v9, v7
	v_mov_b32_e32 v8, v6
	v_add_f32_e32 v1, v13, v1
	v_add_f32_e32 v0, v11, v0
	v_sub_f32_e32 v20, v11, v10
	v_mov_b32_e32 v5, v3
	v_sub_f32_e32 v22, v12, v15
	v_mov_b32_e32 v4, v2
	v_fmac_f32_e32 v9, 0x3f737871, v19
	v_fmac_f32_e32 v8, 0xbf737871, v23
	v_add_f32_e32 v1, v12, v1
	v_add_f32_e32 v0, v10, v0
	v_mul_u32_u24_e32 v10, 0xaa, v114
	v_fmac_f32_e32 v5, 0xbf737871, v20
	v_fmac_f32_e32 v4, 0x3f737871, v22
	;; [unrolled: 1-line block ×4, first 2 shown]
	v_add_f32_e32 v1, v15, v1
	v_fmac_f32_e32 v3, 0x3f737871, v20
	v_fmac_f32_e32 v7, 0xbf737871, v19
	;; [unrolled: 1-line block ×4, first 2 shown]
	v_add_u32_sdwa v10, v10, v115 dst_sel:DWORD dst_unused:UNUSED_PAD src0_sel:DWORD src1_sel:BYTE_0
	v_fmac_f32_e32 v5, 0x3f167918, v19
	v_fmac_f32_e32 v4, 0xbf167918, v23
	v_fmac_f32_e32 v9, 0x3e9e377a, v24
	v_fmac_f32_e32 v8, 0x3e9e377a, v25
	v_add_f32_e32 v1, v16, v1
	v_add_f32_e32 v0, v18, v0
	v_fmac_f32_e32 v3, 0xbf167918, v19
	v_fmac_f32_e32 v7, 0xbf167918, v20
	;; [unrolled: 1-line block ×4, first 2 shown]
	v_lshl_add_u32 v10, v10, 3, v111
	v_fmac_f32_e32 v5, 0x3e9e377a, v14
	v_fmac_f32_e32 v4, 0x3e9e377a, v21
	;; [unrolled: 1-line block ×6, first 2 shown]
	ds_write2_b64 v10, v[0:1], v[8:9] offset1:34
	ds_write2_b64 v10, v[4:5], v[2:3] offset0:68 offset1:102
	ds_write_b64 v10, v[6:7] offset:1088
.LBB0_21:
	s_or_b64 exec, exec, s[12:13]
	s_waitcnt lgkmcnt(0)
	s_barrier
	ds_read2_b64 v[0:3], v112 offset1:85
	ds_read2_b64 v[4:7], v112 offset0:170 offset1:255
	v_add_u32_e32 v8, 0x800, v112
	ds_read2_b64 v[8:11], v8 offset0:84 offset1:169
	v_add_u32_e32 v12, 0xc00, v112
	ds_read2_b64 v[12:15], v12 offset0:126 offset1:211
	v_add_u32_e32 v16, 0x1000, v112
	s_waitcnt lgkmcnt(2)
	v_mul_f32_e32 v52, v41, v5
	ds_read2_b64 v[16:19], v16 offset0:168 offset1:253
	v_fmac_f32_e32 v52, v40, v4
	v_mul_f32_e32 v4, v41, v4
	v_add_u32_e32 v20, 0x1800, v112
	v_fma_f32 v4, v40, v5, -v4
	s_waitcnt lgkmcnt(2)
	v_mul_f32_e32 v5, v43, v9
	ds_read2_b64 v[20:23], v20 offset0:82 offset1:167
	v_fmac_f32_e32 v5, v42, v8
	v_mul_f32_e32 v8, v43, v8
	v_add_u32_e32 v24, 0x1c00, v112
	v_fma_f32 v8, v42, v9, -v8
	s_waitcnt lgkmcnt(2)
	v_mul_f32_e32 v9, v33, v13
	ds_read2_b64 v[24:27], v24 offset0:124 offset1:209
	v_fmac_f32_e32 v9, v32, v12
	v_mul_f32_e32 v12, v33, v12
	v_fma_f32 v12, v32, v13, -v12
	s_waitcnt lgkmcnt(2)
	v_mul_f32_e32 v13, v35, v17
	v_fmac_f32_e32 v13, v34, v16
	v_mul_f32_e32 v16, v35, v16
	v_fma_f32 v16, v34, v17, -v16
	s_waitcnt lgkmcnt(1)
	v_mul_f32_e32 v17, v29, v21
	;; [unrolled: 5-line block ×3, first 2 shown]
	v_fmac_f32_e32 v21, v30, v24
	v_mul_f32_e32 v24, v31, v24
	v_fma_f32 v24, v30, v25, -v24
	v_mul_f32_e32 v25, v49, v7
	v_fmac_f32_e32 v25, v48, v6
	v_mul_f32_e32 v6, v49, v6
	v_fma_f32 v28, v48, v7, -v6
	v_mul_f32_e32 v6, v51, v10
	v_fma_f32 v30, v50, v11, -v6
	;; [unrolled: 2-line block ×3, first 2 shown]
	v_mul_f32_e32 v33, v47, v19
	v_mul_f32_e32 v6, v47, v18
	v_fmac_f32_e32 v33, v46, v18
	v_fma_f32 v18, v46, v19, -v6
	v_mul_f32_e32 v19, v37, v23
	v_mul_f32_e32 v6, v37, v22
	v_fmac_f32_e32 v19, v36, v22
	v_fma_f32 v22, v36, v23, -v6
	v_mul_f32_e32 v23, v39, v27
	v_mul_f32_e32 v6, v39, v26
	;; [unrolled: 1-line block ×4, first 2 shown]
	v_fmac_f32_e32 v23, v38, v26
	v_fma_f32 v26, v38, v27, -v6
	v_add_f32_e32 v6, v52, v21
	v_add_f32_e32 v11, v5, v17
	v_fmac_f32_e32 v31, v44, v14
	v_add_f32_e32 v7, v4, v24
	v_add_f32_e32 v14, v8, v20
	;; [unrolled: 1-line block ×3, first 2 shown]
	v_sub_f32_e32 v9, v13, v9
	v_add_f32_e32 v13, v11, v6
	v_sub_f32_e32 v5, v5, v17
	v_add_f32_e32 v17, v12, v16
	;; [unrolled: 2-line block ×3, first 2 shown]
	v_add_f32_e32 v13, v15, v13
	v_sub_f32_e32 v8, v8, v20
	v_sub_f32_e32 v20, v11, v6
	;; [unrolled: 1-line block ×4, first 2 shown]
	v_add_f32_e32 v15, v17, v16
	v_add_f32_e32 v0, v0, v13
	v_fmac_f32_e32 v29, v50, v10
	v_sub_f32_e32 v10, v52, v21
	v_sub_f32_e32 v4, v4, v24
	;; [unrolled: 1-line block ×5, first 2 shown]
	v_add_f32_e32 v24, v9, v5
	v_add_f32_e32 v27, v12, v8
	v_sub_f32_e32 v34, v9, v5
	v_sub_f32_e32 v35, v12, v8
	v_add_f32_e32 v1, v1, v15
	v_mov_b32_e32 v36, v0
	v_sub_f32_e32 v9, v10, v9
	v_sub_f32_e32 v12, v4, v12
	;; [unrolled: 1-line block ×4, first 2 shown]
	v_add_f32_e32 v10, v24, v10
	v_add_f32_e32 v4, v27, v4
	v_mul_f32_e32 v6, 0x3f4a47b2, v6
	v_mul_f32_e32 v7, 0x3f4a47b2, v7
	;; [unrolled: 1-line block ×6, first 2 shown]
	s_mov_b32 s3, 0xbf5ff5aa
	v_fmac_f32_e32 v36, 0xbf955555, v13
	v_mov_b32_e32 v13, v1
	s_mov_b32 s12, 0x3f3bfb3b
	s_mov_b32 s13, 0xbf3bfb3b
	v_mul_f32_e32 v34, 0xbf5ff5aa, v5
	v_mul_f32_e32 v35, 0xbf5ff5aa, v8
	v_fmac_f32_e32 v13, 0xbf955555, v15
	v_fma_f32 v15, v20, s12, -v16
	v_fma_f32 v16, v21, s12, -v17
	;; [unrolled: 1-line block ×3, first 2 shown]
	v_fmac_f32_e32 v6, 0x3d64c772, v11
	v_fma_f32 v11, v21, s13, -v7
	v_fmac_f32_e32 v7, 0x3d64c772, v14
	v_fma_f32 v14, v5, s3, -v24
	v_fma_f32 v20, v8, s3, -v27
	s_mov_b32 s14, 0x3eae86e6
	v_fmac_f32_e32 v24, 0xbeae86e6, v9
	v_fmac_f32_e32 v27, 0xbeae86e6, v12
	v_fma_f32 v21, v9, s14, -v34
	v_fma_f32 v12, v12, s14, -v35
	v_add_f32_e32 v15, v15, v36
	v_add_f32_e32 v16, v16, v13
	v_fmac_f32_e32 v14, 0xbee1c552, v10
	v_fmac_f32_e32 v20, 0xbee1c552, v4
	v_add_f32_e32 v35, v7, v13
	v_add_f32_e32 v17, v17, v36
	;; [unrolled: 1-line block ×3, first 2 shown]
	v_fmac_f32_e32 v24, 0xbee1c552, v10
	v_fmac_f32_e32 v21, 0xbee1c552, v10
	;; [unrolled: 1-line block ×3, first 2 shown]
	v_sub_f32_e32 v8, v15, v20
	v_add_f32_e32 v9, v14, v16
	v_add_f32_e32 v10, v20, v15
	v_sub_f32_e32 v11, v16, v14
	v_add_f32_e32 v16, v25, v23
	v_sub_f32_e32 v20, v25, v23
	v_add_f32_e32 v23, v29, v19
	v_add_f32_e32 v34, v6, v36
	v_sub_f32_e32 v5, v35, v24
	v_add_f32_e32 v6, v12, v17
	v_sub_f32_e32 v7, v13, v21
	v_sub_f32_e32 v12, v17, v12
	v_add_f32_e32 v13, v21, v13
	v_add_f32_e32 v15, v24, v35
	;; [unrolled: 1-line block ×3, first 2 shown]
	v_sub_f32_e32 v21, v28, v26
	v_add_f32_e32 v24, v30, v22
	v_add_f32_e32 v25, v31, v33
	;; [unrolled: 1-line block ×3, first 2 shown]
	v_fmac_f32_e32 v27, 0xbee1c552, v4
	v_sub_f32_e32 v19, v29, v19
	v_sub_f32_e32 v22, v30, v22
	v_add_f32_e32 v26, v32, v18
	v_add_f32_e32 v29, v24, v17
	v_sub_f32_e32 v30, v23, v16
	v_sub_f32_e32 v16, v16, v25
	;; [unrolled: 1-line block ×3, first 2 shown]
	v_add_f32_e32 v25, v25, v28
	v_add_f32_e32 v4, v27, v34
	v_sub_f32_e32 v14, v34, v27
	v_sub_f32_e32 v27, v33, v31
	;; [unrolled: 1-line block ×6, first 2 shown]
	v_add_f32_e32 v26, v26, v29
	v_add_f32_e32 v2, v2, v25
	;; [unrolled: 1-line block ×4, first 2 shown]
	v_sub_f32_e32 v34, v27, v19
	v_sub_f32_e32 v35, v18, v22
	;; [unrolled: 1-line block ×4, first 2 shown]
	v_add_f32_e32 v3, v3, v26
	v_mov_b32_e32 v36, v2
	v_sub_f32_e32 v27, v20, v27
	v_sub_f32_e32 v18, v21, v18
	v_add_f32_e32 v20, v32, v20
	v_add_f32_e32 v21, v33, v21
	v_mul_f32_e32 v16, 0x3f4a47b2, v16
	v_mul_f32_e32 v17, 0x3f4a47b2, v17
	;; [unrolled: 1-line block ×8, first 2 shown]
	v_fmac_f32_e32 v36, 0xbf955555, v25
	v_mov_b32_e32 v25, v3
	v_fmac_f32_e32 v25, 0xbf955555, v26
	v_fma_f32 v26, v30, s12, -v28
	v_fma_f32 v28, v31, s12, -v29
	;; [unrolled: 1-line block ×3, first 2 shown]
	v_fmac_f32_e32 v16, 0x3d64c772, v23
	v_fma_f32 v23, v31, s13, -v17
	v_fmac_f32_e32 v17, 0x3d64c772, v24
	v_fma_f32 v24, v19, s3, -v32
	;; [unrolled: 2-line block ×4, first 2 shown]
	v_fma_f32 v30, v18, s14, -v35
	v_add_f32_e32 v31, v16, v36
	v_add_f32_e32 v34, v17, v25
	;; [unrolled: 1-line block ×5, first 2 shown]
	v_fmac_f32_e32 v32, 0xbee1c552, v20
	v_fmac_f32_e32 v33, 0xbee1c552, v21
	;; [unrolled: 1-line block ×4, first 2 shown]
	ds_write_b64 v113, v[0:1]
	v_add_u32_e32 v0, 0x800, v113
	v_add_u32_e32 v1, 0x1400, v113
	v_add_f32_e32 v26, v26, v36
	v_fmac_f32_e32 v24, 0xbee1c552, v20
	v_fmac_f32_e32 v22, 0xbee1c552, v21
	v_add_f32_e32 v16, v33, v31
	v_sub_f32_e32 v17, v34, v32
	v_add_f32_e32 v18, v30, v29
	v_sub_f32_e32 v19, v25, v27
	ds_write2_b64 v0, v[6:7], v[8:9] offset0:84 offset1:254
	ds_write2_b64 v1, v[10:11], v[12:13] offset0:40 offset1:210
	ds_write_b64 v113, v[14:15] offset:8160
	ds_write2_b64 v113, v[2:3], v[4:5] offset0:85 offset1:170
	v_add_u32_e32 v1, 0x400, v76
	v_sub_f32_e32 v20, v26, v22
	v_add_f32_e32 v21, v24, v28
	v_add_f32_e32 v22, v22, v26
	v_sub_f32_e32 v23, v28, v24
	ds_write2_b64 v1, v[16:17], v[18:19] offset0:42 offset1:212
	v_add_u32_e32 v1, 0xe00, v76
	s_movk_i32 s2, 0x1000
	v_sub_f32_e32 v24, v29, v30
	v_add_f32_e32 v25, v27, v25
	v_sub_f32_e32 v26, v31, v33
	v_add_f32_e32 v27, v32, v34
	ds_write2_b64 v1, v[20:21], v[22:23] offset0:62 offset1:232
	v_add_u32_e32 v1, 0x1800, v76
	ds_write2_b64 v1, v[24:25], v[26:27] offset0:82 offset1:252
	s_waitcnt lgkmcnt(0)
	s_barrier
	s_and_b64 exec, exec, s[0:1]
	s_cbranch_execz .LBB0_23
; %bb.22:
	global_load_dwordx2 v[1:2], v109, s[8:9]
	ds_read_b64 v[5:6], v113
	v_mad_u64_u32 v[3:4], s[0:1], s6, v80, 0
	v_mad_u64_u32 v[7:8], s[0:1], s4, v110, 0
	s_waitcnt lgkmcnt(0)
	v_mad_u64_u32 v[9:10], s[6:7], s7, v80, v[4:5]
	s_mov_b32 s0, 0x1b89401c
	s_mov_b32 s1, 0x3f4b8940
	v_mad_u64_u32 v[10:11], s[6:7], s5, v110, v[8:9]
	v_mov_b32_e32 v12, s11
	s_mulk_i32 s5, 0x230
	v_mov_b32_e32 v8, v10
	v_lshlrev_b64 v[7:8], 3, v[7:8]
	s_mul_hi_u32 s6, s4, 0x230
	s_mul_i32 s3, s4, 0x230
	s_add_i32 s4, s6, s5
	s_waitcnt vmcnt(0)
	v_mul_f32_e32 v4, v6, v2
	v_mul_f32_e32 v2, v5, v2
	v_fmac_f32_e32 v4, v5, v1
	v_fma_f32 v5, v1, v6, -v2
	v_cvt_f64_f32_e32 v[1:2], v4
	v_cvt_f64_f32_e32 v[5:6], v5
	v_mov_b32_e32 v4, v9
	v_lshlrev_b64 v[3:4], 3, v[3:4]
	v_mul_f64 v[1:2], v[1:2], s[0:1]
	v_mul_f64 v[5:6], v[5:6], s[0:1]
	v_add_co_u32_e32 v3, vcc, s10, v3
	v_addc_co_u32_e32 v4, vcc, v12, v4, vcc
	v_mov_b32_e32 v12, s4
	v_cvt_f32_f64_e32 v1, v[1:2]
	v_cvt_f32_f64_e32 v2, v[5:6]
	v_add_co_u32_e32 v5, vcc, v3, v7
	v_addc_co_u32_e32 v6, vcc, v4, v8, vcc
	global_store_dwordx2 v[5:6], v[1:2], off
	global_load_dwordx2 v[7:8], v109, s[8:9] offset:560
	ds_read2_b64 v[1:4], v113 offset0:70 offset1:140
	v_add_co_u32_e32 v5, vcc, s3, v5
	s_waitcnt vmcnt(0) lgkmcnt(0)
	v_mul_f32_e32 v9, v2, v8
	v_mul_f32_e32 v8, v1, v8
	v_fmac_f32_e32 v9, v1, v7
	v_fma_f32 v7, v7, v2, -v8
	v_cvt_f64_f32_e32 v[1:2], v9
	v_cvt_f64_f32_e32 v[7:8], v7
	v_mov_b32_e32 v9, s4
	v_addc_co_u32_e32 v6, vcc, v6, v9, vcc
	v_mul_f64 v[1:2], v[1:2], s[0:1]
	v_mul_f64 v[7:8], v[7:8], s[0:1]
	v_cvt_f32_f64_e32 v1, v[1:2]
	v_cvt_f32_f64_e32 v2, v[7:8]
	global_store_dwordx2 v[5:6], v[1:2], off
	global_load_dwordx2 v[1:2], v109, s[8:9] offset:1120
	v_add_co_u32_e32 v5, vcc, s3, v5
	s_waitcnt vmcnt(0)
	v_mul_f32_e32 v7, v4, v2
	v_mul_f32_e32 v2, v3, v2
	v_fmac_f32_e32 v7, v3, v1
	v_fma_f32 v3, v1, v4, -v2
	v_cvt_f64_f32_e32 v[1:2], v7
	v_cvt_f64_f32_e32 v[3:4], v3
	v_mov_b32_e32 v7, s4
	v_addc_co_u32_e32 v6, vcc, v6, v7, vcc
	v_mul_f64 v[1:2], v[1:2], s[0:1]
	v_mul_f64 v[3:4], v[3:4], s[0:1]
	v_cvt_f32_f64_e32 v1, v[1:2]
	v_cvt_f32_f64_e32 v2, v[3:4]
	global_store_dwordx2 v[5:6], v[1:2], off
	global_load_dwordx2 v[7:8], v109, s[8:9] offset:1680
	v_add_u32_e32 v1, 0x400, v113
	ds_read2_b64 v[1:4], v1 offset0:82 offset1:152
	v_add_co_u32_e32 v5, vcc, s3, v5
	s_waitcnt vmcnt(0) lgkmcnt(0)
	v_mul_f32_e32 v9, v2, v8
	v_mul_f32_e32 v8, v1, v8
	v_fmac_f32_e32 v9, v1, v7
	v_fma_f32 v7, v7, v2, -v8
	v_cvt_f64_f32_e32 v[1:2], v9
	v_cvt_f64_f32_e32 v[7:8], v7
	v_mov_b32_e32 v9, s4
	v_addc_co_u32_e32 v6, vcc, v6, v9, vcc
	v_mul_f64 v[1:2], v[1:2], s[0:1]
	v_mul_f64 v[7:8], v[7:8], s[0:1]
	v_cvt_f32_f64_e32 v1, v[1:2]
	v_cvt_f32_f64_e32 v2, v[7:8]
	global_store_dwordx2 v[5:6], v[1:2], off
	global_load_dwordx2 v[1:2], v109, s[8:9] offset:2240
	s_waitcnt vmcnt(0)
	v_mul_f32_e32 v7, v4, v2
	v_mul_f32_e32 v2, v3, v2
	v_fmac_f32_e32 v7, v3, v1
	v_fma_f32 v3, v1, v4, -v2
	v_cvt_f64_f32_e32 v[1:2], v7
	v_cvt_f64_f32_e32 v[3:4], v3
	v_mov_b32_e32 v7, s4
	v_mul_f64 v[1:2], v[1:2], s[0:1]
	v_mul_f64 v[3:4], v[3:4], s[0:1]
	v_cvt_f32_f64_e32 v1, v[1:2]
	v_cvt_f32_f64_e32 v2, v[3:4]
	v_add_co_u32_e32 v4, vcc, s3, v5
	v_addc_co_u32_e32 v5, vcc, v6, v7, vcc
	global_store_dwordx2 v[4:5], v[1:2], off
	global_load_dwordx2 v[6:7], v109, s[8:9] offset:2800
	ds_read2_b64 v[0:3], v0 offset0:94 offset1:164
	v_add_co_u32_e32 v4, vcc, s3, v4
	s_waitcnt vmcnt(0) lgkmcnt(0)
	v_mul_f32_e32 v8, v1, v7
	v_mul_f32_e32 v7, v0, v7
	v_fmac_f32_e32 v8, v0, v6
	v_fma_f32 v6, v6, v1, -v7
	v_cvt_f64_f32_e32 v[0:1], v8
	v_cvt_f64_f32_e32 v[6:7], v6
	v_mov_b32_e32 v8, s4
	v_addc_co_u32_e32 v5, vcc, v5, v8, vcc
	v_mul_f64 v[0:1], v[0:1], s[0:1]
	v_mul_f64 v[6:7], v[6:7], s[0:1]
	v_cvt_f32_f64_e32 v0, v[0:1]
	v_cvt_f32_f64_e32 v1, v[6:7]
	global_store_dwordx2 v[4:5], v[0:1], off
	global_load_dwordx2 v[0:1], v109, s[8:9] offset:3360
	v_add_co_u32_e32 v4, vcc, s3, v4
	s_waitcnt vmcnt(0)
	v_mul_f32_e32 v6, v3, v1
	v_mul_f32_e32 v1, v2, v1
	v_fmac_f32_e32 v6, v2, v0
	v_fma_f32 v2, v0, v3, -v1
	v_cvt_f64_f32_e32 v[0:1], v6
	v_cvt_f64_f32_e32 v[2:3], v2
	v_mov_b32_e32 v6, s4
	v_addc_co_u32_e32 v5, vcc, v5, v6, vcc
	v_mul_f64 v[0:1], v[0:1], s[0:1]
	v_mul_f64 v[2:3], v[2:3], s[0:1]
	v_add_co_u32_e32 v10, vcc, s8, v109
	v_cvt_f32_f64_e32 v0, v[0:1]
	v_cvt_f32_f64_e32 v1, v[2:3]
	global_store_dwordx2 v[4:5], v[0:1], off
	global_load_dwordx2 v[6:7], v109, s[8:9] offset:3920
	v_add_u32_e32 v0, 0xc00, v113
	ds_read2_b64 v[0:3], v0 offset0:106 offset1:176
	s_waitcnt vmcnt(0) lgkmcnt(0)
	v_mul_f32_e32 v8, v1, v7
	v_mul_f32_e32 v7, v0, v7
	v_fmac_f32_e32 v8, v0, v6
	v_fma_f32 v6, v6, v1, -v7
	v_cvt_f64_f32_e32 v[0:1], v8
	v_cvt_f64_f32_e32 v[6:7], v6
	v_mov_b32_e32 v8, s9
	v_addc_co_u32_e32 v11, vcc, 0, v8, vcc
	v_mul_f64 v[0:1], v[0:1], s[0:1]
	v_mul_f64 v[6:7], v[6:7], s[0:1]
	v_add_co_u32_e32 v8, vcc, s2, v10
	v_addc_co_u32_e32 v9, vcc, 0, v11, vcc
	v_add_co_u32_e32 v4, vcc, s3, v4
	v_cvt_f32_f64_e32 v0, v[0:1]
	v_cvt_f32_f64_e32 v1, v[6:7]
	v_addc_co_u32_e32 v5, vcc, v5, v12, vcc
	s_movk_i32 s2, 0x2000
	global_store_dwordx2 v[4:5], v[0:1], off
	global_load_dwordx2 v[0:1], v[8:9], off offset:384
	v_add_co_u32_e32 v4, vcc, s3, v4
	s_waitcnt vmcnt(0)
	v_mul_f32_e32 v6, v3, v1
	v_mul_f32_e32 v1, v2, v1
	v_fmac_f32_e32 v6, v2, v0
	v_fma_f32 v2, v0, v3, -v1
	v_cvt_f64_f32_e32 v[0:1], v6
	v_cvt_f64_f32_e32 v[2:3], v2
	v_mov_b32_e32 v6, s4
	v_addc_co_u32_e32 v5, vcc, v5, v6, vcc
	v_mul_f64 v[0:1], v[0:1], s[0:1]
	v_mul_f64 v[2:3], v[2:3], s[0:1]
	v_cvt_f32_f64_e32 v0, v[0:1]
	v_cvt_f32_f64_e32 v1, v[2:3]
	global_store_dwordx2 v[4:5], v[0:1], off
	global_load_dwordx2 v[6:7], v[8:9], off offset:944
	v_add_u32_e32 v0, 0x1000, v113
	ds_read2_b64 v[0:3], v0 offset0:118 offset1:188
	v_add_co_u32_e32 v4, vcc, s3, v4
	s_waitcnt vmcnt(0) lgkmcnt(0)
	v_mul_f32_e32 v12, v1, v7
	v_mul_f32_e32 v7, v0, v7
	v_fmac_f32_e32 v12, v0, v6
	v_fma_f32 v6, v6, v1, -v7
	v_cvt_f64_f32_e32 v[0:1], v12
	v_cvt_f64_f32_e32 v[6:7], v6
	v_mov_b32_e32 v12, s4
	v_addc_co_u32_e32 v5, vcc, v5, v12, vcc
	v_mul_f64 v[0:1], v[0:1], s[0:1]
	v_mul_f64 v[6:7], v[6:7], s[0:1]
	v_add_u32_e32 v12, 0x1800, v113
	v_cvt_f32_f64_e32 v0, v[0:1]
	v_cvt_f32_f64_e32 v1, v[6:7]
	global_store_dwordx2 v[4:5], v[0:1], off
	global_load_dwordx2 v[0:1], v[8:9], off offset:1504
	v_add_co_u32_e32 v4, vcc, s3, v4
	s_waitcnt vmcnt(0)
	v_mul_f32_e32 v6, v3, v1
	v_mul_f32_e32 v1, v2, v1
	v_fmac_f32_e32 v6, v2, v0
	v_fma_f32 v2, v0, v3, -v1
	v_cvt_f64_f32_e32 v[0:1], v6
	v_cvt_f64_f32_e32 v[2:3], v2
	v_mov_b32_e32 v6, s4
	v_addc_co_u32_e32 v5, vcc, v5, v6, vcc
	v_mul_f64 v[0:1], v[0:1], s[0:1]
	v_mul_f64 v[2:3], v[2:3], s[0:1]
	v_cvt_f32_f64_e32 v0, v[0:1]
	v_cvt_f32_f64_e32 v1, v[2:3]
	global_store_dwordx2 v[4:5], v[0:1], off
	global_load_dwordx2 v[6:7], v[8:9], off offset:2064
	ds_read2_b64 v[0:3], v12 offset0:2 offset1:72
	v_add_co_u32_e32 v4, vcc, s3, v4
	s_waitcnt vmcnt(0) lgkmcnt(0)
	v_mul_f32_e32 v13, v1, v7
	v_mul_f32_e32 v7, v0, v7
	v_fmac_f32_e32 v13, v0, v6
	v_fma_f32 v6, v6, v1, -v7
	v_cvt_f64_f32_e32 v[0:1], v13
	v_cvt_f64_f32_e32 v[6:7], v6
	v_mov_b32_e32 v13, s4
	v_addc_co_u32_e32 v5, vcc, v5, v13, vcc
	v_mul_f64 v[0:1], v[0:1], s[0:1]
	v_mul_f64 v[6:7], v[6:7], s[0:1]
	v_cvt_f32_f64_e32 v0, v[0:1]
	v_cvt_f32_f64_e32 v1, v[6:7]
	global_store_dwordx2 v[4:5], v[0:1], off
	global_load_dwordx2 v[0:1], v[8:9], off offset:2624
	v_add_co_u32_e32 v4, vcc, s3, v4
	s_waitcnt vmcnt(0)
	v_mul_f32_e32 v6, v3, v1
	v_mul_f32_e32 v1, v2, v1
	v_fmac_f32_e32 v6, v2, v0
	v_fma_f32 v2, v0, v3, -v1
	v_cvt_f64_f32_e32 v[0:1], v6
	v_cvt_f64_f32_e32 v[2:3], v2
	v_mov_b32_e32 v6, s4
	v_addc_co_u32_e32 v5, vcc, v5, v6, vcc
	v_mul_f64 v[0:1], v[0:1], s[0:1]
	v_mul_f64 v[2:3], v[2:3], s[0:1]
	v_cvt_f32_f64_e32 v0, v[0:1]
	v_cvt_f32_f64_e32 v1, v[2:3]
	global_store_dwordx2 v[4:5], v[0:1], off
	global_load_dwordx2 v[6:7], v[8:9], off offset:3184
	ds_read2_b64 v[0:3], v12 offset0:142 offset1:212
	v_add_co_u32_e32 v4, vcc, s3, v4
	s_waitcnt vmcnt(0) lgkmcnt(0)
	v_mul_f32_e32 v12, v1, v7
	v_mul_f32_e32 v7, v0, v7
	v_fmac_f32_e32 v12, v0, v6
	v_fma_f32 v6, v6, v1, -v7
	v_cvt_f64_f32_e32 v[0:1], v12
	v_cvt_f64_f32_e32 v[6:7], v6
	v_mov_b32_e32 v12, s4
	v_addc_co_u32_e32 v5, vcc, v5, v12, vcc
	v_mul_f64 v[0:1], v[0:1], s[0:1]
	v_mul_f64 v[6:7], v[6:7], s[0:1]
	v_cvt_f32_f64_e32 v0, v[0:1]
	v_cvt_f32_f64_e32 v1, v[6:7]
	global_store_dwordx2 v[4:5], v[0:1], off
	global_load_dwordx2 v[0:1], v[8:9], off offset:3744
	v_mov_b32_e32 v8, s4
	s_waitcnt vmcnt(0)
	v_mul_f32_e32 v6, v3, v1
	v_mul_f32_e32 v1, v2, v1
	v_fmac_f32_e32 v6, v2, v0
	v_fma_f32 v2, v0, v3, -v1
	v_cvt_f64_f32_e32 v[0:1], v6
	v_cvt_f64_f32_e32 v[2:3], v2
	v_add_co_u32_e32 v6, vcc, s2, v10
	v_mul_f64 v[0:1], v[0:1], s[0:1]
	v_mul_f64 v[2:3], v[2:3], s[0:1]
	v_addc_co_u32_e32 v7, vcc, 0, v11, vcc
	v_add_co_u32_e32 v4, vcc, s3, v4
	v_addc_co_u32_e32 v5, vcc, v5, v8, vcc
	v_cvt_f32_f64_e32 v0, v[0:1]
	v_cvt_f32_f64_e32 v1, v[2:3]
	global_store_dwordx2 v[4:5], v[0:1], off
	global_load_dwordx2 v[8:9], v[6:7], off offset:208
	v_add_u32_e32 v0, 0x2000, v113
	ds_read2_b64 v[0:3], v0 offset0:26 offset1:96
	v_add_co_u32_e32 v4, vcc, s3, v4
	s_waitcnt vmcnt(0) lgkmcnt(0)
	v_mul_f32_e32 v10, v1, v9
	v_mul_f32_e32 v9, v0, v9
	v_fmac_f32_e32 v10, v0, v8
	v_fma_f32 v8, v8, v1, -v9
	v_cvt_f64_f32_e32 v[0:1], v10
	v_cvt_f64_f32_e32 v[8:9], v8
	v_mov_b32_e32 v10, s4
	v_addc_co_u32_e32 v5, vcc, v5, v10, vcc
	v_mul_f64 v[0:1], v[0:1], s[0:1]
	v_mul_f64 v[8:9], v[8:9], s[0:1]
	v_cvt_f32_f64_e32 v0, v[0:1]
	v_cvt_f32_f64_e32 v1, v[8:9]
	global_store_dwordx2 v[4:5], v[0:1], off
	global_load_dwordx2 v[0:1], v[6:7], off offset:768
	s_waitcnt vmcnt(0)
	v_mul_f32_e32 v6, v3, v1
	v_mul_f32_e32 v1, v2, v1
	v_fmac_f32_e32 v6, v2, v0
	v_fma_f32 v2, v0, v3, -v1
	v_cvt_f64_f32_e32 v[0:1], v6
	v_cvt_f64_f32_e32 v[2:3], v2
	v_mov_b32_e32 v6, s4
	v_mul_f64 v[0:1], v[0:1], s[0:1]
	v_mul_f64 v[2:3], v[2:3], s[0:1]
	v_cvt_f32_f64_e32 v0, v[0:1]
	v_cvt_f32_f64_e32 v1, v[2:3]
	v_add_co_u32_e32 v2, vcc, s3, v4
	v_addc_co_u32_e32 v3, vcc, v5, v6, vcc
	global_store_dwordx2 v[2:3], v[0:1], off
.LBB0_23:
	s_endpgm
	.section	.rodata,"a",@progbits
	.p2align	6, 0x0
	.amdhsa_kernel bluestein_single_back_len1190_dim1_sp_op_CI_CI
		.amdhsa_group_segment_fixed_size 28560
		.amdhsa_private_segment_fixed_size 0
		.amdhsa_kernarg_size 104
		.amdhsa_user_sgpr_count 6
		.amdhsa_user_sgpr_private_segment_buffer 1
		.amdhsa_user_sgpr_dispatch_ptr 0
		.amdhsa_user_sgpr_queue_ptr 0
		.amdhsa_user_sgpr_kernarg_segment_ptr 1
		.amdhsa_user_sgpr_dispatch_id 0
		.amdhsa_user_sgpr_flat_scratch_init 0
		.amdhsa_user_sgpr_private_segment_size 0
		.amdhsa_uses_dynamic_stack 0
		.amdhsa_system_sgpr_private_segment_wavefront_offset 0
		.amdhsa_system_sgpr_workgroup_id_x 1
		.amdhsa_system_sgpr_workgroup_id_y 0
		.amdhsa_system_sgpr_workgroup_id_z 0
		.amdhsa_system_sgpr_workgroup_info 0
		.amdhsa_system_vgpr_workitem_id 0
		.amdhsa_next_free_vgpr 252
		.amdhsa_next_free_sgpr 22
		.amdhsa_reserve_vcc 1
		.amdhsa_reserve_flat_scratch 0
		.amdhsa_float_round_mode_32 0
		.amdhsa_float_round_mode_16_64 0
		.amdhsa_float_denorm_mode_32 3
		.amdhsa_float_denorm_mode_16_64 3
		.amdhsa_dx10_clamp 1
		.amdhsa_ieee_mode 1
		.amdhsa_fp16_overflow 0
		.amdhsa_exception_fp_ieee_invalid_op 0
		.amdhsa_exception_fp_denorm_src 0
		.amdhsa_exception_fp_ieee_div_zero 0
		.amdhsa_exception_fp_ieee_overflow 0
		.amdhsa_exception_fp_ieee_underflow 0
		.amdhsa_exception_fp_ieee_inexact 0
		.amdhsa_exception_int_div_zero 0
	.end_amdhsa_kernel
	.text
.Lfunc_end0:
	.size	bluestein_single_back_len1190_dim1_sp_op_CI_CI, .Lfunc_end0-bluestein_single_back_len1190_dim1_sp_op_CI_CI
                                        ; -- End function
	.section	.AMDGPU.csdata,"",@progbits
; Kernel info:
; codeLenInByte = 21696
; NumSgprs: 26
; NumVgprs: 252
; ScratchSize: 0
; MemoryBound: 0
; FloatMode: 240
; IeeeMode: 1
; LDSByteSize: 28560 bytes/workgroup (compile time only)
; SGPRBlocks: 3
; VGPRBlocks: 62
; NumSGPRsForWavesPerEU: 26
; NumVGPRsForWavesPerEU: 252
; Occupancy: 1
; WaveLimiterHint : 1
; COMPUTE_PGM_RSRC2:SCRATCH_EN: 0
; COMPUTE_PGM_RSRC2:USER_SGPR: 6
; COMPUTE_PGM_RSRC2:TRAP_HANDLER: 0
; COMPUTE_PGM_RSRC2:TGID_X_EN: 1
; COMPUTE_PGM_RSRC2:TGID_Y_EN: 0
; COMPUTE_PGM_RSRC2:TGID_Z_EN: 0
; COMPUTE_PGM_RSRC2:TIDIG_COMP_CNT: 0
	.type	__hip_cuid_6773c38ddee7b0e6,@object ; @__hip_cuid_6773c38ddee7b0e6
	.section	.bss,"aw",@nobits
	.globl	__hip_cuid_6773c38ddee7b0e6
__hip_cuid_6773c38ddee7b0e6:
	.byte	0                               ; 0x0
	.size	__hip_cuid_6773c38ddee7b0e6, 1

	.ident	"AMD clang version 19.0.0git (https://github.com/RadeonOpenCompute/llvm-project roc-6.4.0 25133 c7fe45cf4b819c5991fe208aaa96edf142730f1d)"
	.section	".note.GNU-stack","",@progbits
	.addrsig
	.addrsig_sym __hip_cuid_6773c38ddee7b0e6
	.amdgpu_metadata
---
amdhsa.kernels:
  - .args:
      - .actual_access:  read_only
        .address_space:  global
        .offset:         0
        .size:           8
        .value_kind:     global_buffer
      - .actual_access:  read_only
        .address_space:  global
        .offset:         8
        .size:           8
        .value_kind:     global_buffer
      - .actual_access:  read_only
        .address_space:  global
        .offset:         16
        .size:           8
        .value_kind:     global_buffer
      - .actual_access:  read_only
        .address_space:  global
        .offset:         24
        .size:           8
        .value_kind:     global_buffer
      - .actual_access:  read_only
        .address_space:  global
        .offset:         32
        .size:           8
        .value_kind:     global_buffer
      - .offset:         40
        .size:           8
        .value_kind:     by_value
      - .address_space:  global
        .offset:         48
        .size:           8
        .value_kind:     global_buffer
      - .address_space:  global
        .offset:         56
        .size:           8
        .value_kind:     global_buffer
      - .address_space:  global
        .offset:         64
        .size:           8
        .value_kind:     global_buffer
      - .address_space:  global
        .offset:         72
        .size:           8
        .value_kind:     global_buffer
      - .offset:         80
        .size:           4
        .value_kind:     by_value
      - .address_space:  global
        .offset:         88
        .size:           8
        .value_kind:     global_buffer
      - .address_space:  global
        .offset:         96
        .size:           8
        .value_kind:     global_buffer
    .group_segment_fixed_size: 28560
    .kernarg_segment_align: 8
    .kernarg_segment_size: 104
    .language:       OpenCL C
    .language_version:
      - 2
      - 0
    .max_flat_workgroup_size: 255
    .name:           bluestein_single_back_len1190_dim1_sp_op_CI_CI
    .private_segment_fixed_size: 0
    .sgpr_count:     26
    .sgpr_spill_count: 0
    .symbol:         bluestein_single_back_len1190_dim1_sp_op_CI_CI.kd
    .uniform_work_group_size: 1
    .uses_dynamic_stack: false
    .vgpr_count:     252
    .vgpr_spill_count: 0
    .wavefront_size: 64
amdhsa.target:   amdgcn-amd-amdhsa--gfx906
amdhsa.version:
  - 1
  - 2
...

	.end_amdgpu_metadata
